;; amdgpu-corpus repo=ROCm/rocFFT kind=compiled arch=gfx950 opt=O3
	.text
	.amdgcn_target "amdgcn-amd-amdhsa--gfx950"
	.amdhsa_code_object_version 6
	.protected	bluestein_single_fwd_len297_dim1_dp_op_CI_CI ; -- Begin function bluestein_single_fwd_len297_dim1_dp_op_CI_CI
	.globl	bluestein_single_fwd_len297_dim1_dp_op_CI_CI
	.p2align	8
	.type	bluestein_single_fwd_len297_dim1_dp_op_CI_CI,@function
bluestein_single_fwd_len297_dim1_dp_op_CI_CI: ; @bluestein_single_fwd_len297_dim1_dp_op_CI_CI
; %bb.0:
	s_load_dwordx4 s[16:19], s[0:1], 0x28
	v_mul_u32_u24_e32 v1, 0x7c2, v0
	v_lshrrev_b32_e32 v2, 16, v1
	v_mad_u64_u32 v[144:145], s[2:3], s2, 7, v[2:3]
	v_mov_b32_e32 v145, 0
	s_waitcnt lgkmcnt(0)
	v_cmp_gt_u64_e32 vcc, s[16:17], v[144:145]
	s_and_saveexec_b64 s[2:3], vcc
	s_cbranch_execz .LBB0_10
; %bb.1:
	s_load_dwordx4 s[4:7], s[0:1], 0x18
	s_load_dwordx4 s[8:11], s[0:1], 0x0
	v_mul_lo_u16_e32 v1, 33, v2
	v_sub_u16_e32 v243, v0, v1
	v_mov_b32_e32 v4, s18
	s_waitcnt lgkmcnt(0)
	s_load_dwordx4 s[12:15], s[4:5], 0x0
	v_mov_b32_e32 v5, s19
	v_lshlrev_b32_e32 v146, 4, v243
	v_mov_b32_e32 v147, v145
	v_lshl_add_u64 v[16:17], s[8:9], 0, v[146:147]
	s_waitcnt lgkmcnt(0)
	v_mad_u64_u32 v[0:1], s[2:3], s14, v144, 0
	v_mov_b32_e32 v2, v1
	v_mad_u64_u32 v[2:3], s[2:3], s15, v144, v[2:3]
	v_mov_b32_e32 v1, v2
	v_mad_u64_u32 v[2:3], s[2:3], s12, v243, 0
	v_mov_b32_e32 v6, v3
	v_mad_u64_u32 v[6:7], s[2:3], s13, v243, v[6:7]
	v_mov_b32_e32 v3, v6
	v_lshl_add_u64 v[0:1], v[0:1], 4, v[4:5]
	v_lshl_add_u64 v[0:1], v[2:3], 4, v[0:1]
	v_mov_b32_e32 v4, 0x210
	global_load_dwordx4 v[36:39], v[0:1], off
	v_mad_u64_u32 v[0:1], s[2:3], s12, v4, v[0:1]
	s_mul_i32 s2, s13, 0x210
	s_nop 0
	v_add_u32_e32 v1, s2, v1
	v_mad_u64_u32 v[2:3], s[4:5], s12, v4, v[0:1]
	v_add_u32_e32 v3, s2, v3
	global_load_dwordx4 v[22:25], v146, s[8:9]
	global_load_dwordx4 v[248:251], v146, s[8:9] offset:528
	global_load_dwordx4 v[40:43], v[0:1], off
	global_load_dwordx4 v[44:47], v[2:3], off
	v_mad_u64_u32 v[0:1], s[4:5], s12, v4, v[2:3]
	v_add_u32_e32 v1, s2, v1
	v_mad_u64_u32 v[2:3], s[4:5], s12, v4, v[0:1]
	global_load_dwordx4 v[18:21], v146, s[8:9] offset:1056
	global_load_dwordx4 v[6:9], v146, s[8:9] offset:1584
	v_add_u32_e32 v3, s2, v3
	global_load_dwordx4 v[48:51], v[0:1], off
	global_load_dwordx4 v[52:55], v[2:3], off
	v_mad_u64_u32 v[0:1], s[4:5], s12, v4, v[2:3]
	v_add_u32_e32 v1, s2, v1
	global_load_dwordx4 v[56:59], v[0:1], off
	global_load_dwordx4 v[32:35], v146, s[8:9] offset:2112
	global_load_dwordx4 v[252:255], v146, s[8:9] offset:2640
	v_mad_u64_u32 v[0:1], s[4:5], s12, v4, v[0:1]
	v_add_u32_e32 v1, s2, v1
	global_load_dwordx4 v[60:63], v[0:1], off
	v_mad_u64_u32 v[0:1], s[4:5], s12, v4, v[0:1]
	v_add_u32_e32 v1, s2, v1
	global_load_dwordx4 v[64:67], v[0:1], off
	global_load_dwordx4 v[28:31], v146, s[8:9] offset:3168
	global_load_dwordx4 v[244:247], v146, s[8:9] offset:3696
	v_mad_u64_u32 v[0:1], s[4:5], s12, v4, v[0:1]
	v_add_u32_e32 v1, s2, v1
	s_movk_i32 s2, 0x1000
	v_add_co_u32_e32 v2, vcc, s2, v16
	s_mov_b32 s2, 0x24924925
	s_nop 0
	v_addc_co_u32_e32 v3, vcc, 0, v17, vcc
	global_load_dwordx4 v[10:13], v[2:3], off offset:128
	global_load_dwordx4 v[68:71], v[0:1], off
	v_mul_hi_u32 v0, v144, s2
	v_sub_u32_e32 v1, v144, v0
	v_lshrrev_b32_e32 v1, 1, v1
	v_add_u32_e32 v0, v1, v0
	v_lshrrev_b32_e32 v0, 2, v0
	v_mul_lo_u32 v0, v0, 7
	v_sub_u32_e32 v0, v144, v0
	v_mul_u32_u24_e32 v0, 0x129, v0
	v_lshlrev_b32_e32 v240, 4, v0
	v_add_u32_e32 v145, v146, v240
	s_load_dwordx4 s[4:7], s[6:7], 0x0
	s_mov_b32 s18, 0xa2cf5039
	s_mov_b32 s3, 0x3fe491b7
	;; [unrolled: 1-line block ×16, first 2 shown]
	v_cmp_gt_u16_e32 vcc, 27, v243
                                        ; implicit-def: $vgpr136_vgpr137
                                        ; implicit-def: $vgpr140_vgpr141
	s_waitcnt vmcnt(16)
	v_accvgpr_write_b32 a27, v25
	v_mul_f64 v[72:73], v[38:39], v[24:25]
	v_mul_f64 v[0:1], v[36:37], v[24:25]
	v_fmac_f64_e32 v[72:73], v[36:37], v[22:23]
	v_fma_f64 v[74:75], v[38:39], v[22:23], -v[0:1]
	s_waitcnt vmcnt(14)
	v_mul_f64 v[36:37], v[42:43], v[250:251]
	v_mul_f64 v[0:1], v[40:41], v[250:251]
	v_fmac_f64_e32 v[36:37], v[40:41], v[248:249]
	v_fma_f64 v[38:39], v[42:43], v[248:249], -v[0:1]
	ds_write_b128 v145, v[36:39] offset:528
	s_waitcnt vmcnt(12)
	v_mul_f64 v[36:37], v[46:47], v[20:21]
	v_mul_f64 v[0:1], v[44:45], v[20:21]
	v_fmac_f64_e32 v[36:37], v[44:45], v[18:19]
	v_fma_f64 v[38:39], v[46:47], v[18:19], -v[0:1]
	ds_write_b128 v145, v[36:39] offset:1056
	;; [unrolled: 6-line block ×7, first 2 shown]
	s_waitcnt vmcnt(0)
	v_mul_f64 v[36:37], v[70:71], v[12:13]
	v_mul_f64 v[0:1], v[68:69], v[12:13]
	v_fmac_f64_e32 v[36:37], v[68:69], v[10:11]
	v_fma_f64 v[38:39], v[70:71], v[10:11], -v[0:1]
	ds_write_b128 v145, v[72:75]
	ds_write_b128 v145, v[36:39] offset:4224
	s_waitcnt lgkmcnt(0)
	s_barrier
	ds_read_b128 v[36:39], v145
	ds_read_b128 v[40:43], v145 offset:528
	ds_read_b128 v[44:47], v145 offset:1056
	;; [unrolled: 1-line block ×8, first 2 shown]
	s_waitcnt lgkmcnt(4)
	v_add_f64 v[0:1], v[40:41], v[52:53]
	v_add_f64 v[82:83], v[42:43], -v[54:55]
	v_add_f64 v[2:3], v[42:43], v[54:55]
	s_waitcnt lgkmcnt(2)
	v_add_f64 v[72:73], v[44:45], v[60:61]
	v_add_f64 v[74:75], v[46:47], v[62:63]
	v_add_f64 v[80:81], v[40:41], -v[52:53]
	v_add_f64 v[86:87], v[46:47], -v[62:63]
	v_mul_f64 v[46:47], v[82:83], s[2:3]
	v_fma_f64 v[40:41], s[18:19], v[0:1], v[36:37]
	v_add_f64 v[76:77], v[48:49], v[56:57]
	v_add_f64 v[84:85], v[44:45], -v[60:61]
	v_add_f64 v[88:89], v[48:49], -v[56:57]
	;; [unrolled: 1-line block ×3, first 2 shown]
	v_mul_f64 v[48:49], v[80:81], s[2:3]
	v_fmac_f64_e32 v[46:47], s[16:17], v[86:87]
	v_fma_f64 v[42:43], s[18:19], v[2:3], v[38:39]
	v_fmac_f64_e32 v[40:41], s[20:21], v[72:73]
	v_add_f64 v[78:79], v[50:51], v[58:59]
	v_fmac_f64_e32 v[48:49], s[16:17], v[84:85]
	v_fmac_f64_e32 v[46:47], s[12:13], v[90:91]
	s_waitcnt lgkmcnt(0)
	v_add_f64 v[94:95], v[66:67], -v[70:71]
	v_fmac_f64_e32 v[42:43], s[20:21], v[74:75]
	v_fmac_f64_e32 v[40:41], -0.5, v[76:77]
	v_add_f64 v[96:97], v[64:65], v[68:69]
	v_fmac_f64_e32 v[48:49], s[12:13], v[88:89]
	v_add_f64 v[92:93], v[64:65], -v[68:69]
	v_fmac_f64_e32 v[46:47], s[22:23], v[94:95]
	v_fmac_f64_e32 v[42:43], -0.5, v[78:79]
	v_add_f64 v[98:99], v[66:67], v[70:71]
	v_fmac_f64_e32 v[40:41], s[24:25], v[96:97]
	v_fmac_f64_e32 v[48:49], s[22:23], v[92:93]
	;; [unrolled: 1-line block ×3, first 2 shown]
	v_add_f64 v[40:41], v[46:47], v[40:41]
	v_add_f64 v[42:43], v[42:43], -v[48:49]
	v_mov_b64_e32 v[44:45], v[40:41]
	v_fmac_f64_e32 v[44:45], -2.0, v[46:47]
	v_mov_b64_e32 v[46:47], v[42:43]
	s_mov_b32 s3, 0xbfe491b7
	v_fmac_f64_e32 v[46:47], 2.0, v[48:49]
	v_mul_f64 v[54:55], v[94:95], s[2:3]
	v_fma_f64 v[48:49], s[18:19], v[96:97], v[36:37]
	v_mul_f64 v[56:57], v[92:93], s[2:3]
	v_fmac_f64_e32 v[54:55], s[16:17], v[82:83]
	v_fma_f64 v[50:51], s[18:19], v[98:99], v[38:39]
	v_fmac_f64_e32 v[48:49], s[20:21], v[0:1]
	v_fmac_f64_e32 v[56:57], s[16:17], v[80:81]
	;; [unrolled: 1-line block ×4, first 2 shown]
	v_fmac_f64_e32 v[48:49], -0.5, v[76:77]
	v_fmac_f64_e32 v[56:57], s[14:15], v[88:89]
	v_fmac_f64_e32 v[54:55], s[22:23], v[86:87]
	v_fmac_f64_e32 v[50:51], -0.5, v[78:79]
	v_fmac_f64_e32 v[48:49], s[24:25], v[72:73]
	v_fmac_f64_e32 v[56:57], s[22:23], v[84:85]
	;; [unrolled: 1-line block ×3, first 2 shown]
	v_add_f64 v[48:49], v[48:49], v[54:55]
	v_add_f64 v[50:51], v[50:51], -v[56:57]
	v_mov_b64_e32 v[52:53], v[48:49]
	v_fmac_f64_e32 v[52:53], -2.0, v[54:55]
	v_mov_b64_e32 v[54:55], v[50:51]
	v_fmac_f64_e32 v[54:55], 2.0, v[56:57]
	v_add_f64 v[56:57], v[92:93], v[80:81]
	v_mul_f64 v[92:93], v[92:93], s[16:17]
	v_add_f64 v[60:61], v[56:57], -v[84:85]
	v_fma_f64 v[84:85], v[84:85], s[2:3], -v[92:93]
	v_add_f64 v[104:105], v[72:73], v[0:1]
	v_fmac_f64_e32 v[84:85], s[12:13], v[88:89]
	v_fmac_f64_e32 v[84:85], s[22:23], v[80:81]
	v_add_f64 v[80:81], v[76:77], v[104:105]
	v_add_f64 v[64:65], v[64:65], v[80:81]
	;; [unrolled: 1-line block ×5, first 2 shown]
	v_mul_f64 v[94:95], v[94:95], s[16:17]
	v_add_f64 v[64:65], v[36:37], v[64:65]
	v_fmac_f64_e32 v[36:37], s[18:19], v[72:73]
	v_add_f64 v[62:63], v[58:59], -v[86:87]
	v_fma_f64 v[86:87], v[86:87], s[2:3], -v[94:95]
	v_fmac_f64_e32 v[36:37], s[20:21], v[96:97]
	v_add_f64 v[106:107], v[74:75], v[2:3]
	v_fmac_f64_e32 v[86:87], s[12:13], v[90:91]
	v_fmac_f64_e32 v[36:37], -0.5, v[76:77]
	v_fmac_f64_e32 v[86:87], s[22:23], v[82:83]
	v_add_f64 v[82:83], v[78:79], v[106:107]
	v_fmac_f64_e32 v[36:37], s[24:25], v[0:1]
	v_mul_lo_u16_e32 v0, 9, v243
	v_add_f64 v[66:67], v[66:67], v[82:83]
	v_lshl_add_u32 v242, v0, 4, v240
	v_mov_b32_e32 v0, 57
	v_add_f64 v[66:67], v[70:71], v[66:67]
	v_mul_lo_u16_sdwa v1, v243, v0 dst_sel:DWORD dst_unused:UNUSED_PAD src0_sel:BYTE_0 src1_sel:DWORD
	v_add_f64 v[58:59], v[38:39], v[78:79]
	v_add_f64 v[66:67], v[38:39], v[66:67]
	v_fmac_f64_e32 v[38:39], s[18:19], v[74:75]
	v_lshrrev_b16_e32 v4, 9, v1
	v_fmac_f64_e32 v[38:39], s[20:21], v[98:99]
	v_mul_lo_u16_e32 v1, 9, v4
	v_add_f64 v[108:109], v[96:97], v[104:105]
	v_add_f64 v[110:111], v[98:99], v[106:107]
	v_fmac_f64_e32 v[38:39], -0.5, v[78:79]
	v_sub_u16_e32 v5, v243, v1
	v_fmac_f64_e32 v[56:57], -0.5, v[108:109]
	v_fmac_f64_e32 v[58:59], -0.5, v[110:111]
	v_fmac_f64_e32 v[38:39], s[24:25], v[2:3]
	v_lshlrev_b16_e32 v1, 1, v5
	v_fmac_f64_e32 v[56:57], s[12:13], v[62:63]
	v_fmac_f64_e32 v[58:59], s[14:15], v[60:61]
	v_add_f64 v[36:37], v[86:87], v[36:37]
	v_add_f64 v[38:39], v[38:39], -v[84:85]
	v_and_b32_e32 v1, 0xfe, v1
	v_mul_f64 v[100:101], v[60:61], s[12:13]
	v_mul_f64 v[102:103], v[62:63], s[12:13]
	v_mov_b64_e32 v[60:61], v[56:57]
	v_mov_b64_e32 v[62:63], v[58:59]
	;; [unrolled: 1-line block ×4, first 2 shown]
	v_lshlrev_b32_e32 v1, 4, v1
	v_fmac_f64_e32 v[60:61], -2.0, v[102:103]
	v_fmac_f64_e32 v[62:63], 2.0, v[100:101]
	v_fmac_f64_e32 v[68:69], -2.0, v[86:87]
	v_fmac_f64_e32 v[70:71], 2.0, v[84:85]
	s_barrier
	ds_write_b128 v242, v[64:67]
	ds_write_b128 v242, v[40:43] offset:16
	ds_write_b128 v242, v[48:51] offset:32
	;; [unrolled: 1-line block ×8, first 2 shown]
	s_waitcnt lgkmcnt(0)
	s_barrier
	global_load_dwordx4 v[36:39], v1, s[10:11] offset:16
	global_load_dwordx4 v[40:43], v1, s[10:11]
	v_add_u16_e32 v1, 33, v243
	v_accvgpr_write_b32 a15, v9
	v_mul_lo_u16_sdwa v2, v1, v0 dst_sel:DWORD dst_unused:UNUSED_PAD src0_sel:BYTE_0 src1_sel:DWORD
	v_accvgpr_write_b32 a14, v8
	v_accvgpr_write_b32 a13, v7
	;; [unrolled: 1-line block ×3, first 2 shown]
	v_lshrrev_b16_e32 v6, 9, v2
	v_mul_lo_u16_e32 v2, 9, v6
	v_sub_u16_e32 v7, v1, v2
	v_mov_b32_e32 v1, 5
	v_lshlrev_b32_sdwa v2, v1, v7 dst_sel:DWORD dst_unused:UNUSED_PAD src0_sel:DWORD src1_sel:BYTE_0
	global_load_dwordx4 v[52:55], v2, s[10:11]
	global_load_dwordx4 v[48:51], v2, s[10:11] offset:16
	v_add_u16_e32 v2, 0x42, v243
	v_mul_lo_u16_sdwa v0, v2, v0 dst_sel:DWORD dst_unused:UNUSED_PAD src0_sel:BYTE_0 src1_sel:DWORD
	v_lshrrev_b16_e32 v8, 9, v0
	v_mul_lo_u16_e32 v0, 9, v8
	v_sub_u16_e32 v9, v2, v0
	v_lshlrev_b32_sdwa v0, v1, v9 dst_sel:DWORD dst_unused:UNUSED_PAD src0_sel:DWORD src1_sel:BYTE_0
	global_load_dwordx4 v[64:67], v0, s[10:11]
	global_load_dwordx4 v[60:63], v0, s[10:11] offset:16
	ds_read_b128 v[100:103], v145
	ds_read_b128 v[104:107], v145 offset:528
	ds_read_b128 v[44:47], v145 offset:3168
	;; [unrolled: 1-line block ×8, first 2 shown]
	s_mov_b32 s12, 0xe8584caa
	s_mov_b32 s14, s12
	s_load_dwordx2 s[2:3], s[0:1], 0x38
	s_waitcnt lgkmcnt(0)
	s_barrier
	v_accvgpr_write_b32 a23, v21
	v_accvgpr_write_b32 a19, v13
	;; [unrolled: 1-line block ×11, first 2 shown]
	s_waitcnt vmcnt(4)
	v_mul_f64 v[0:1], v[70:71], v[42:43]
	v_fma_f64 v[0:1], v[68:69], v[40:41], -v[0:1]
	v_mul_f64 v[2:3], v[68:69], v[42:43]
	v_mul_f64 v[68:69], v[46:47], v[38:39]
	v_fma_f64 v[68:69], v[44:45], v[36:37], -v[68:69]
	v_mul_f64 v[44:45], v[44:45], v[38:39]
	v_fmac_f64_e32 v[44:45], v[46:47], v[36:37]
	v_fmac_f64_e32 v[2:3], v[70:71], v[40:41]
	s_waitcnt vmcnt(3)
	v_mul_f64 v[46:47], v[74:75], v[54:55]
	v_fma_f64 v[46:47], v[72:73], v[52:53], -v[46:47]
	v_mul_f64 v[70:71], v[72:73], v[54:55]
	s_waitcnt vmcnt(2)
	v_mul_f64 v[72:73], v[58:59], v[50:51]
	v_fma_f64 v[72:73], v[56:57], v[48:49], -v[72:73]
	v_mul_f64 v[56:57], v[56:57], v[50:51]
	v_fmac_f64_e32 v[56:57], v[58:59], v[48:49]
	s_waitcnt vmcnt(1)
	v_mul_f64 v[58:59], v[78:79], v[66:67]
	v_fmac_f64_e32 v[70:71], v[74:75], v[52:53]
	v_fma_f64 v[58:59], v[76:77], v[64:65], -v[58:59]
	v_mul_f64 v[74:75], v[76:77], v[66:67]
	s_waitcnt vmcnt(0)
	v_mul_f64 v[76:77], v[82:83], v[62:63]
	v_fmac_f64_e32 v[74:75], v[78:79], v[64:65]
	v_fma_f64 v[76:77], v[80:81], v[60:61], -v[76:77]
	v_mul_f64 v[78:79], v[80:81], v[62:63]
	v_add_f64 v[80:81], v[100:101], v[0:1]
	v_add_f64 v[108:109], v[80:81], v[68:69]
	;; [unrolled: 1-line block ×3, first 2 shown]
	v_fmac_f64_e32 v[100:101], -0.5, v[80:81]
	v_add_f64 v[80:81], v[2:3], -v[44:45]
	v_fma_f64 v[112:113], s[12:13], v[80:81], v[100:101]
	v_fmac_f64_e32 v[100:101], s[14:15], v[80:81]
	v_add_f64 v[80:81], v[102:103], v[2:3]
	v_add_f64 v[2:3], v[2:3], v[44:45]
	v_fmac_f64_e32 v[102:103], -0.5, v[2:3]
	v_add_f64 v[0:1], v[0:1], -v[68:69]
	v_fma_f64 v[114:115], s[14:15], v[0:1], v[102:103]
	v_fmac_f64_e32 v[102:103], s[12:13], v[0:1]
	v_add_f64 v[0:1], v[104:105], v[46:47]
	v_add_f64 v[120:121], v[0:1], v[72:73]
	v_add_f64 v[0:1], v[46:47], v[72:73]
	v_fmac_f64_e32 v[104:105], -0.5, v[0:1]
	v_add_f64 v[0:1], v[70:71], -v[56:57]
	v_fma_f64 v[124:125], s[12:13], v[0:1], v[104:105]
	v_fmac_f64_e32 v[104:105], s[14:15], v[0:1]
	v_add_f64 v[0:1], v[106:107], v[70:71]
	v_add_f64 v[122:123], v[0:1], v[56:57]
	v_add_f64 v[0:1], v[70:71], v[56:57]
	v_fmac_f64_e32 v[106:107], -0.5, v[0:1]
	v_add_f64 v[0:1], v[46:47], -v[72:73]
	v_fma_f64 v[126:127], s[14:15], v[0:1], v[106:107]
	v_fmac_f64_e32 v[106:107], s[12:13], v[0:1]
	v_add_f64 v[0:1], v[116:117], v[58:59]
	v_fmac_f64_e32 v[78:79], v[82:83], v[60:61]
	v_add_f64 v[128:129], v[0:1], v[76:77]
	v_add_f64 v[0:1], v[58:59], v[76:77]
	v_fmac_f64_e32 v[116:117], -0.5, v[0:1]
	v_add_f64 v[0:1], v[74:75], -v[78:79]
	v_fma_f64 v[132:133], s[12:13], v[0:1], v[116:117]
	v_fmac_f64_e32 v[116:117], s[14:15], v[0:1]
	v_add_f64 v[0:1], v[118:119], v[74:75]
	v_add_f64 v[130:131], v[0:1], v[78:79]
	;; [unrolled: 1-line block ×3, first 2 shown]
	v_fmac_f64_e32 v[118:119], -0.5, v[0:1]
	v_add_f64 v[0:1], v[58:59], -v[76:77]
	v_fma_f64 v[134:135], s[14:15], v[0:1], v[118:119]
	v_fmac_f64_e32 v[118:119], s[12:13], v[0:1]
	v_mad_legacy_u16 v0, v4, 27, v5
	v_and_b32_e32 v0, 0xff, v0
	v_lshl_add_u32 v241, v0, 4, v240
	v_mul_u32_u24_e32 v0, 27, v6
	v_add_u32_sdwa v0, v0, v7 dst_sel:DWORD dst_unused:UNUSED_PAD src0_sel:DWORD src1_sel:BYTE_0
	v_add_f64 v[110:111], v[80:81], v[44:45]
	v_lshl_add_u32 v0, v0, 4, v240
	ds_write_b128 v241, v[108:111]
	ds_write_b128 v241, v[112:115] offset:144
	ds_write_b128 v241, v[100:103] offset:288
	ds_write_b128 v0, v[120:123]
	ds_write_b128 v0, v[124:127] offset:144
	v_accvgpr_write_b32 a29, v0
	ds_write_b128 v0, v[104:107] offset:288
	v_mul_u32_u24_e32 v0, 27, v8
	v_add_u32_sdwa v0, v0, v9 dst_sel:DWORD dst_unused:UNUSED_PAD src0_sel:DWORD src1_sel:BYTE_0
	v_lshl_add_u32 v0, v0, 4, v240
	v_accvgpr_write_b32 a30, v0
	ds_write_b128 v0, v[128:131]
	ds_write_b128 v0, v[132:135] offset:144
	ds_write_b128 v0, v[116:119] offset:288
	s_waitcnt lgkmcnt(0)
	s_barrier
	s_and_saveexec_b64 s[0:1], vcc
	s_cbranch_execz .LBB0_3
; %bb.2:
	ds_read_b128 v[108:111], v145
	ds_read_b128 v[112:115], v145 offset:432
	ds_read_b128 v[100:103], v145 offset:864
	;; [unrolled: 1-line block ×10, first 2 shown]
.LBB0_3:
	s_or_b64 exec, exec, s[0:1]
	v_subrev_u32_e32 v0, 27, v243
	v_cndmask_b32_e32 v0, v0, v243, vcc
	v_mul_hi_i32_i24_e32 v1, 0xa0, v0
	v_mul_i32_i24_e32 v0, 0xa0, v0
	v_lshl_add_u64 v[0:1], s[10:11], 0, v[0:1]
	global_load_dwordx4 v[44:47], v[0:1], off offset:288
	global_load_dwordx4 v[56:59], v[0:1], off offset:304
	;; [unrolled: 1-line block ×10, first 2 shown]
	s_mov_b32 s12, 0xf8bb580b
	s_mov_b32 s0, 0x8764f0ba
	;; [unrolled: 1-line block ×26, first 2 shown]
	s_waitcnt vmcnt(9) lgkmcnt(9)
	v_mul_f64 v[148:149], v[112:113], v[46:47]
	v_mul_f64 v[0:1], v[114:115], v[46:47]
	s_waitcnt vmcnt(8) lgkmcnt(8)
	v_mul_f64 v[150:151], v[100:101], v[58:59]
	v_fmac_f64_e32 v[148:149], v[114:115], v[44:45]
	v_mul_f64 v[2:3], v[102:103], v[58:59]
	s_waitcnt vmcnt(4) lgkmcnt(4)
	v_mul_f64 v[158:159], v[128:129], v[94:95]
	v_mul_f64 v[152:153], v[120:121], v[70:71]
	s_waitcnt vmcnt(2) lgkmcnt(2)
	v_mul_f64 v[162:163], v[116:117], v[82:83]
	s_waitcnt vmcnt(1) lgkmcnt(1)
	;; [unrolled: 2-line block ×3, first 2 shown]
	v_mul_f64 v[170:171], v[140:141], v[78:79]
	v_mul_f64 v[164:165], v[136:137], v[86:87]
	v_mul_f64 v[186:187], v[142:143], v[78:79]
	v_fmac_f64_e32 v[170:171], v[142:143], v[76:77]
	v_mul_f64 v[154:155], v[124:125], v[74:75]
	v_mul_f64 v[178:179], v[130:131], v[94:95]
	;; [unrolled: 1-line block ×4, first 2 shown]
	v_fma_f64 v[166:167], v[112:113], v[44:45], -v[0:1]
	v_fmac_f64_e32 v[150:151], v[102:103], v[56:57]
	v_fmac_f64_e32 v[158:159], v[130:131], v[92:93]
	;; [unrolled: 1-line block ×3, first 2 shown]
	v_fma_f64 v[118:119], v[136:137], v[84:85], -v[184:185]
	v_fmac_f64_e32 v[164:165], v[138:139], v[84:85]
	v_fma_f64 v[130:131], v[140:141], v[76:77], -v[186:187]
	v_add_f64 v[184:185], v[148:149], -v[170:171]
	v_mul_f64 v[172:173], v[122:123], v[70:71]
	v_mul_f64 v[174:175], v[126:127], v[74:75]
	;; [unrolled: 1-line block ×3, first 2 shown]
	v_fma_f64 v[168:169], v[100:101], v[56:57], -v[2:3]
	v_fmac_f64_e32 v[152:153], v[122:123], v[68:69]
	v_fmac_f64_e32 v[154:155], v[126:127], v[72:73]
	v_fma_f64 v[126:127], v[128:129], v[92:93], -v[178:179]
	v_fma_f64 v[128:129], v[132:133], v[88:89], -v[180:181]
	v_add_f64 v[142:143], v[166:167], v[130:131]
	v_add_f64 v[178:179], v[166:167], -v[130:131]
	v_add_f64 v[188:189], v[150:151], -v[164:165]
	v_mul_f64 v[132:133], v[184:185], s[12:13]
	v_mul_f64 v[176:177], v[106:107], v[98:99]
	v_fma_f64 v[120:121], v[120:121], v[68:69], -v[172:173]
	v_fma_f64 v[122:123], v[124:125], v[72:73], -v[174:175]
	v_fmac_f64_e32 v[160:161], v[134:135], v[88:89]
	v_fma_f64 v[116:117], v[116:117], v[80:81], -v[182:183]
	v_add_f64 v[192:193], v[148:149], v[170:171]
	v_add_f64 v[174:175], v[168:169], v[118:119]
	v_add_f64 v[182:183], v[168:169], -v[118:119]
	v_add_f64 v[190:191], v[152:153], -v[162:163]
	v_mul_f64 v[136:137], v[178:179], s[12:13]
	v_mul_f64 v[134:135], v[188:189], s[16:17]
	v_fma_f64 v[0:1], s[0:1], v[142:143], v[132:133]
	v_fma_f64 v[124:125], v[104:105], v[96:97], -v[176:177]
	v_add_f64 v[198:199], v[150:151], v[164:165]
	v_add_f64 v[176:177], v[120:121], v[116:117]
	v_mul_f64 v[140:141], v[182:183], s[16:17]
	v_mul_f64 v[138:139], v[190:191], s[18:19]
	v_fma_f64 v[2:3], v[192:193], s[0:1], -v[136:137]
	v_fma_f64 v[100:101], s[10:11], v[174:175], v[134:135]
	v_add_f64 v[0:1], v[108:109], v[0:1]
	v_add_f64 v[196:197], v[120:121], -v[116:117]
	v_mul_f64 v[156:157], v[104:105], v[98:99]
	v_add_f64 v[200:201], v[152:153], v[162:163]
	v_fma_f64 v[102:103], v[198:199], s[10:11], -v[140:141]
	v_add_f64 v[2:3], v[110:111], v[2:3]
	v_add_f64 v[0:1], v[100:101], v[0:1]
	v_fma_f64 v[100:101], s[14:15], v[176:177], v[138:139]
	v_mul_f64 v[172:173], v[196:197], s[18:19]
	v_add_f64 v[218:219], v[154:155], -v[160:161]
	v_fmac_f64_e32 v[156:157], v[106:107], v[96:97]
	v_add_f64 v[2:3], v[102:103], v[2:3]
	v_add_f64 v[0:1], v[100:101], v[0:1]
	v_fma_f64 v[100:101], v[200:201], s[14:15], -v[172:173]
	v_add_f64 v[202:203], v[122:123], v[128:129]
	v_mul_f64 v[180:181], v[218:219], s[24:25]
	v_add_f64 v[210:211], v[122:123], -v[128:129]
	v_add_f64 v[2:3], v[100:101], v[2:3]
	v_fma_f64 v[100:101], s[22:23], v[202:203], v[180:181]
	v_add_f64 v[232:233], v[154:155], v[160:161]
	v_mul_f64 v[186:187], v[210:211], s[24:25]
	v_add_f64 v[236:237], v[156:157], -v[158:159]
	v_add_f64 v[0:1], v[100:101], v[0:1]
	v_fma_f64 v[100:101], v[232:233], s[22:23], -v[186:187]
	v_add_f64 v[214:215], v[124:125], v[126:127]
	v_mul_f64 v[194:195], v[236:237], s[30:31]
	v_add_f64 v[230:231], v[124:125], -v[126:127]
	v_add_f64 v[2:3], v[100:101], v[2:3]
	v_fma_f64 v[100:101], s[26:27], v[214:215], v[194:195]
	v_add_f64 v[238:239], v[156:157], v[158:159]
	v_mul_f64 v[204:205], v[230:231], s[30:31]
	v_add_f64 v[100:101], v[100:101], v[0:1]
	v_fma_f64 v[0:1], v[238:239], s[26:27], -v[204:205]
	v_mul_f64 v[206:207], v[184:185], s[16:17]
	v_add_f64 v[102:103], v[0:1], v[2:3]
	v_fma_f64 v[0:1], s[10:11], v[142:143], v[206:207]
	v_mul_f64 v[208:209], v[188:189], s[24:25]
	v_add_f64 v[0:1], v[108:109], v[0:1]
	v_fma_f64 v[2:3], s[22:23], v[174:175], v[208:209]
	v_mul_f64 v[216:217], v[178:179], s[16:17]
	v_add_f64 v[0:1], v[2:3], v[0:1]
	v_fma_f64 v[2:3], v[192:193], s[10:11], -v[216:217]
	v_mul_f64 v[220:221], v[182:183], s[24:25]
	v_add_f64 v[2:3], v[110:111], v[2:3]
	v_fma_f64 v[104:105], v[198:199], s[22:23], -v[220:221]
	v_mul_f64 v[212:213], v[190:191], s[28:29]
	v_add_f64 v[2:3], v[104:105], v[2:3]
	v_fma_f64 v[104:105], s[26:27], v[176:177], v[212:213]
	v_mul_f64 v[224:225], v[196:197], s[28:29]
	v_add_f64 v[0:1], v[104:105], v[0:1]
	v_fma_f64 v[104:105], v[200:201], s[26:27], -v[224:225]
	v_mul_f64 v[222:223], v[218:219], s[34:35]
	v_add_f64 v[2:3], v[104:105], v[2:3]
	v_fma_f64 v[104:105], s[14:15], v[202:203], v[222:223]
	;; [unrolled: 6-line block ×3, first 2 shown]
	v_mul_f64 v[234:235], v[230:231], s[36:37]
	v_add_f64 v[104:105], v[104:105], v[0:1]
	v_fma_f64 v[0:1], v[238:239], s[0:1], -v[234:235]
	v_add_f64 v[106:107], v[0:1], v[2:3]
	s_and_saveexec_b64 s[20:21], vcc
	s_cbranch_execz .LBB0_5
; %bb.4:
	v_mul_f64 v[0:1], v[142:143], s[0:1]
	v_accvgpr_write_b32 a33, v1
	v_accvgpr_write_b32 a32, v0
	v_mul_f64 v[0:1], v[192:193], s[0:1]
	v_accvgpr_write_b32 a39, v1
	v_accvgpr_write_b32 a38, v0
	;; [unrolled: 3-line block ×15, first 2 shown]
	v_mul_f64 v[0:1], v[238:239], s[26:27]
	v_accvgpr_write_b32 a4, v248
	v_mul_f64 v[4:5], v[192:193], s[26:27]
	v_accvgpr_write_b32 a8, v252
	v_accvgpr_write_b32 a55, v1
	v_accvgpr_write_b32 a5, v249
	v_accvgpr_write_b32 a6, v250
	v_accvgpr_write_b32 a7, v251
	v_mul_f64 v[250:251], v[198:199], s[0:1]
	v_fma_f64 v[6:7], s[28:29], v[178:179], v[4:5]
	v_accvgpr_write_b32 a9, v253
	v_accvgpr_write_b32 a10, v254
	;; [unrolled: 1-line block ×5, first 2 shown]
	v_mul_f64 v[0:1], v[214:215], s[0:1]
	v_mul_f64 v[248:249], v[200:201], s[22:23]
	s_mov_b32 s41, 0x3fe82f19
	s_mov_b32 s40, s24
	v_fma_f64 v[252:253], s[12:13], v[182:183], v[250:251]
	v_add_f64 v[6:7], v[110:111], v[6:7]
	v_mul_f64 v[16:17], v[184:185], s[30:31]
	v_fmac_f64_e32 v[4:5], s[30:31], v[178:179]
	v_accvgpr_write_b32 a1, v245
	v_accvgpr_write_b32 a2, v246
	;; [unrolled: 1-line block ×4, first 2 shown]
	v_mul_f64 v[246:247], v[232:233], s[10:11]
	v_fma_f64 v[114:115], s[40:41], v[196:197], v[248:249]
	v_add_f64 v[6:7], v[252:253], v[6:7]
	v_mul_f64 v[12:13], v[188:189], s[36:37]
	v_fma_f64 v[18:19], s[26:27], v[142:143], v[16:17]
	v_fmac_f64_e32 v[250:251], s[36:37], v[182:183]
	v_add_f64 v[4:5], v[110:111], v[4:5]
	v_accvgpr_write_b32 a64, v0
	v_mul_f64 v[0:1], v[238:239], s[14:15]
	v_fma_f64 v[112:113], s[16:17], v[210:211], v[246:247]
	v_add_f64 v[6:7], v[114:115], v[6:7]
	s_mov_b32 s39, 0x3fed1bb4
	s_mov_b32 s38, s16
	v_mul_f64 v[8:9], v[190:191], s[24:25]
	v_fma_f64 v[14:15], s[0:1], v[174:175], v[12:13]
	v_add_f64 v[18:19], v[108:109], v[18:19]
	v_fmac_f64_e32 v[248:249], s[24:25], v[196:197]
	v_add_f64 v[4:5], v[250:251], v[4:5]
	v_fma_f64 v[2:3], s[34:35], v[230:231], v[0:1]
	v_add_f64 v[6:7], v[112:113], v[6:7]
	v_mul_f64 v[252:253], v[218:219], s[38:39]
	v_fma_f64 v[10:11], s[22:23], v[176:177], v[8:9]
	v_add_f64 v[14:15], v[14:15], v[18:19]
	v_fmac_f64_e32 v[246:247], s[38:39], v[210:211]
	v_add_f64 v[4:5], v[248:249], v[4:5]
	v_add_f64 v[114:115], v[2:3], v[6:7]
	v_mul_f64 v[2:3], v[236:237], s[18:19]
	v_fma_f64 v[112:113], s[10:11], v[202:203], v[252:253]
	v_add_f64 v[10:11], v[10:11], v[14:15]
	v_fmac_f64_e32 v[0:1], s[18:19], v[230:231]
	v_add_f64 v[4:5], v[246:247], v[4:5]
	v_fma_f64 v[6:7], s[14:15], v[214:215], v[2:3]
	v_add_f64 v[10:11], v[112:113], v[10:11]
	v_add_f64 v[248:249], v[0:1], v[4:5]
	v_fma_f64 v[4:5], v[176:177], s[22:23], -v[8:9]
	v_fma_f64 v[8:9], v[142:143], s[26:27], -v[16:17]
	v_add_f64 v[112:113], v[6:7], v[10:11]
	v_fma_f64 v[6:7], v[174:175], s[0:1], -v[12:13]
	v_add_f64 v[8:9], v[108:109], v[8:9]
	v_mul_f64 v[16:17], v[192:193], s[22:23]
	v_add_f64 v[6:7], v[6:7], v[8:9]
	v_mul_f64 v[12:13], v[198:199], s[14:15]
	v_fma_f64 v[18:19], s[40:41], v[178:179], v[16:17]
	v_fma_f64 v[0:1], v[214:215], s[14:15], -v[2:3]
	v_fma_f64 v[2:3], v[202:203], s[10:11], -v[252:253]
	v_add_f64 v[4:5], v[4:5], v[6:7]
	v_mul_f64 v[8:9], v[200:201], s[0:1]
	v_fma_f64 v[14:15], s[18:19], v[182:183], v[12:13]
	v_add_f64 v[18:19], v[110:111], v[18:19]
	v_mul_f64 v[24:25], v[184:185], s[24:25]
	v_add_f64 v[2:3], v[2:3], v[4:5]
	v_mul_f64 v[4:5], v[232:233], s[26:27]
	v_fma_f64 v[10:11], s[36:37], v[196:197], v[8:9]
	v_add_f64 v[14:15], v[14:15], v[18:19]
	v_mul_f64 v[20:21], v[188:189], s[34:35]
	v_fma_f64 v[26:27], s[22:23], v[142:143], v[24:25]
	;; [unrolled: 3-line block ×4, first 2 shown]
	v_add_f64 v[26:27], v[108:109], v[26:27]
	v_fma_f64 v[2:3], s[16:17], v[230:231], v[0:1]
	v_add_f64 v[6:7], v[6:7], v[10:11]
	v_mul_f64 v[10:11], v[218:219], s[30:31]
	v_fma_f64 v[250:251], s[0:1], v[176:177], v[18:19]
	v_add_f64 v[22:23], v[22:23], v[26:27]
	v_add_f64 v[252:253], v[2:3], v[6:7]
	v_mul_f64 v[6:7], v[236:237], s[38:39]
	v_fma_f64 v[14:15], s[26:27], v[202:203], v[10:11]
	v_add_f64 v[22:23], v[250:251], v[22:23]
	v_fma_f64 v[2:3], s[10:11], v[214:215], v[6:7]
	v_add_f64 v[14:15], v[14:15], v[22:23]
	v_fmac_f64_e32 v[16:17], s[24:25], v[178:179]
	v_add_f64 v[250:251], v[2:3], v[14:15]
	v_fmac_f64_e32 v[12:13], s[34:35], v[182:183]
	;; [unrolled: 2-line block ×4, first 2 shown]
	v_add_f64 v[2:3], v[8:9], v[2:3]
	v_add_f64 v[2:3], v[4:5], v[2:3]
	v_fma_f64 v[4:5], v[202:203], s[26:27], -v[10:11]
	v_fma_f64 v[10:11], v[142:143], s[22:23], -v[24:25]
	v_fmac_f64_e32 v[0:1], s[38:39], v[230:231]
	v_fma_f64 v[8:9], v[174:175], s[14:15], -v[20:21]
	v_add_f64 v[10:11], v[108:109], v[10:11]
	v_mul_f64 v[20:21], v[192:193], s[14:15]
	v_add_f64 v[2:3], v[0:1], v[2:3]
	v_fma_f64 v[0:1], v[214:215], s[10:11], -v[6:7]
	v_fma_f64 v[6:7], v[176:177], s[0:1], -v[18:19]
	v_add_f64 v[8:9], v[8:9], v[10:11]
	v_mul_f64 v[16:17], v[198:199], s[26:27]
	v_fma_f64 v[22:23], s[34:35], v[178:179], v[20:21]
	v_add_f64 v[6:7], v[6:7], v[8:9]
	v_mul_f64 v[12:13], v[200:201], s[10:11]
	v_fma_f64 v[18:19], s[30:31], v[182:183], v[16:17]
	v_add_f64 v[22:23], v[110:111], v[22:23]
	v_mul_f64 v[184:185], v[184:185], s[18:19]
	v_add_f64 v[4:5], v[4:5], v[6:7]
	v_mul_f64 v[8:9], v[232:233], s[0:1]
	v_fma_f64 v[14:15], s[16:17], v[196:197], v[12:13]
	v_add_f64 v[18:19], v[18:19], v[22:23]
	v_mul_f64 v[22:23], v[190:191], s[38:39]
	v_mul_f64 v[26:27], v[188:189], s[28:29]
	v_fma_f64 v[190:191], s[14:15], v[142:143], v[184:185]
	v_add_f64 v[0:1], v[0:1], v[4:5]
	v_mul_f64 v[4:5], v[238:239], s[22:23]
	v_fma_f64 v[10:11], s[36:37], v[210:211], v[8:9]
	v_add_f64 v[14:15], v[14:15], v[18:19]
	v_fma_f64 v[188:189], s[26:27], v[174:175], v[26:27]
	v_add_f64 v[190:191], v[108:109], v[190:191]
	;; [unrolled: 2-line block ×3, first 2 shown]
	v_mul_f64 v[14:15], v[218:219], s[12:13]
	v_fma_f64 v[24:25], s[10:11], v[176:177], v[22:23]
	v_add_f64 v[188:189], v[188:189], v[190:191]
	v_add_f64 v[192:193], v[6:7], v[10:11]
	v_mul_f64 v[6:7], v[236:237], s[24:25]
	v_fma_f64 v[18:19], s[0:1], v[202:203], v[14:15]
	v_add_f64 v[24:25], v[24:25], v[188:189]
	v_fma_f64 v[10:11], s[22:23], v[214:215], v[6:7]
	v_add_f64 v[18:19], v[18:19], v[24:25]
	v_fmac_f64_e32 v[20:21], s[18:19], v[178:179]
	v_add_f64 v[190:191], v[10:11], v[18:19]
	v_fmac_f64_e32 v[16:17], s[28:29], v[182:183]
	;; [unrolled: 2-line block ×4, first 2 shown]
	v_add_f64 v[10:11], v[12:13], v[10:11]
	v_fma_f64 v[12:13], v[142:143], s[14:15], -v[184:185]
	v_fmac_f64_e32 v[4:5], s[24:25], v[230:231]
	v_add_f64 v[8:9], v[8:9], v[10:11]
	v_fma_f64 v[10:11], v[174:175], s[26:27], -v[26:27]
	v_add_f64 v[12:13], v[108:109], v[12:13]
	v_add_f64 v[178:179], v[4:5], v[8:9]
	v_fma_f64 v[8:9], v[176:177], s[10:11], -v[22:23]
	v_add_f64 v[10:11], v[10:11], v[12:13]
	v_accvgpr_read_b32 v12, a58
	v_add_f64 v[8:9], v[8:9], v[10:11]
	v_accvgpr_read_b32 v10, a62
	v_accvgpr_read_b32 v13, a59
	;; [unrolled: 1-line block ×3, first 2 shown]
	v_add_f64 v[12:13], v[216:217], v[12:13]
	v_mul_f64 v[254:255], v[200:201], s[26:27]
	v_fma_f64 v[4:5], v[214:215], s[22:23], -v[6:7]
	v_fma_f64 v[6:7], v[202:203], s[0:1], -v[14:15]
	v_add_f64 v[10:11], v[220:221], v[10:11]
	v_add_f64 v[12:13], v[110:111], v[12:13]
	v_mul_f64 v[244:245], v[232:233], s[14:15]
	v_add_f64 v[6:7], v[6:7], v[8:9]
	v_add_f64 v[8:9], v[224:225], v[254:255]
	;; [unrolled: 1-line block ×3, first 2 shown]
	v_accvgpr_read_b32 v12, a48
	v_mov_b32_e32 v147, v240
	v_accvgpr_write_b32 a28, v241
	v_mul_f64 v[240:241], v[238:239], s[0:1]
	v_add_f64 v[176:177], v[4:5], v[6:7]
	v_add_f64 v[6:7], v[228:229], v[244:245]
	;; [unrolled: 1-line block ×3, first 2 shown]
	v_accvgpr_read_b32 v10, a52
	v_accvgpr_read_b32 v13, a49
	v_add_f64 v[4:5], v[234:235], v[240:241]
	v_add_f64 v[6:7], v[6:7], v[8:9]
	v_accvgpr_read_b32 v8, a56
	v_accvgpr_read_b32 v11, a53
	v_add_f64 v[12:13], v[12:13], -v[206:207]
	v_add_f64 v[184:185], v[4:5], v[6:7]
	v_accvgpr_read_b32 v6, a60
	v_accvgpr_read_b32 v9, a57
	v_add_f64 v[10:11], v[10:11], -v[208:209]
	;; [unrolled: 4-line block ×5, first 2 shown]
	v_add_f64 v[6:7], v[6:7], v[8:9]
	v_accvgpr_read_b32 v8, a46
	v_accvgpr_read_b32 v11, a43
	v_add_f64 v[12:13], v[136:137], v[12:13]
	v_add_f64 v[182:183], v[4:5], v[6:7]
	v_accvgpr_read_b32 v6, a50
	v_accvgpr_read_b32 v9, a47
	v_add_f64 v[10:11], v[140:141], v[10:11]
	;; [unrolled: 4-line block ×5, first 2 shown]
	v_add_f64 v[6:7], v[6:7], v[8:9]
	v_accvgpr_read_b32 v8, a36
	v_accvgpr_read_b32 v11, a35
	v_add_f64 v[12:13], v[12:13], -v[132:133]
	v_add_f64 v[136:137], v[4:5], v[6:7]
	v_accvgpr_read_b32 v6, a40
	v_accvgpr_read_b32 v9, a37
	v_add_f64 v[10:11], v[10:11], -v[134:135]
	;; [unrolled: 4-line block ×3, first 2 shown]
	v_add_f64 v[10:11], v[10:11], v[12:13]
	v_accvgpr_read_b32 v5, a45
	v_add_f64 v[6:7], v[6:7], -v[180:181]
	v_add_f64 v[8:9], v[8:9], v[10:11]
	v_add_f64 v[4:5], v[4:5], -v[194:195]
	v_add_f64 v[6:7], v[6:7], v[8:9]
	v_add_f64 v[134:135], v[4:5], v[6:7]
	;; [unrolled: 1-line block ×20, first 2 shown]
	v_mov_b32_e32 v240, v147
	v_add_f64 v[4:5], v[4:5], v[118:119]
	v_add_f64 v[108:109], v[4:5], v[130:131]
	v_lshl_add_u32 v4, v243, 4, v240
	ds_write_b128 v145, v[108:111]
	ds_write_b128 v4, v[134:137] offset:432
	ds_write_b128 v4, v[182:185] offset:864
	;; [unrolled: 1-line block ×5, first 2 shown]
	v_accvgpr_read_b32 v247, a3
	ds_write_b128 v4, v[112:115] offset:2592
	ds_write_b128 v4, v[250:253] offset:3024
	v_accvgpr_read_b32 v255, a11
	v_accvgpr_read_b32 v251, a7
	;; [unrolled: 1-line block ×12, first 2 shown]
	ds_write_b128 v4, v[190:193] offset:3456
	ds_write_b128 v4, v[104:107] offset:3888
	;; [unrolled: 1-line block ×3, first 2 shown]
.LBB0_5:
	s_or_b64 exec, exec, s[20:21]
	v_mov_b32_e32 v147, 0
	v_lshl_add_u64 v[116:117], s[8:9], 0, v[146:147]
	s_movk_i32 s0, 0x1000
	v_add_co_u32_e64 v0, s[0:1], s0, v116
	s_mov_b64 s[8:9], 0x1290
	s_nop 0
	v_addc_co_u32_e64 v1, s[0:1], 0, v117, s[0:1]
	v_lshl_add_u64 v[4:5], v[116:117], 0, s[8:9]
	s_movk_i32 s0, 0x2000
	s_waitcnt lgkmcnt(0)
	s_barrier
	global_load_dwordx4 v[108:111], v[0:1], off offset:656
	global_load_dwordx4 v[112:115], v[4:5], off offset:528
	s_nop 0
	global_load_dwordx4 v[0:3], v[4:5], off offset:1056
	global_load_dwordx4 v[118:121], v[4:5], off offset:1584
	;; [unrolled: 1-line block ×6, first 2 shown]
	v_add_co_u32_e64 v4, s[0:1], s0, v116
	s_mov_b32 s14, 0xa2cf5039
	s_nop 0
	v_addc_co_u32_e64 v5, s[0:1], 0, v117, s[0:1]
	global_load_dwordx4 v[138:141], v[4:5], off offset:784
	ds_read_b128 v[146:149], v145
	ds_read_b128 v[150:153], v145 offset:528
	ds_read_b128 v[154:157], v145 offset:1056
	;; [unrolled: 1-line block ×8, first 2 shown]
	s_mov_b32 s11, 0x3fe491b7
	s_mov_b32 s10, 0x523c161c
	;; [unrolled: 1-line block ×15, first 2 shown]
	s_waitcnt vmcnt(7) lgkmcnt(7)
	v_mul_f64 v[6:7], v[152:153], v[114:115]
	s_waitcnt vmcnt(6) lgkmcnt(6)
	v_mul_f64 v[8:9], v[156:157], v[2:3]
	v_mul_f64 v[142:143], v[154:155], v[2:3]
	s_waitcnt vmcnt(5) lgkmcnt(5)
	v_mul_f64 v[10:11], v[160:161], v[120:121]
	v_mul_f64 v[2:3], v[158:159], v[120:121]
	v_mul_f64 v[4:5], v[148:149], v[110:111]
	v_mul_f64 v[116:117], v[146:147], v[110:111]
	v_mul_f64 v[110:111], v[150:151], v[114:115]
	s_waitcnt vmcnt(4) lgkmcnt(4)
	v_mul_f64 v[12:13], v[164:165], v[124:125]
	v_mul_f64 v[120:121], v[162:163], v[124:125]
	s_waitcnt vmcnt(3) lgkmcnt(3)
	v_mul_f64 v[14:15], v[168:169], v[128:129]
	v_mul_f64 v[124:125], v[166:167], v[128:129]
	;; [unrolled: 3-line block ×5, first 2 shown]
	v_fma_f64 v[114:115], v[146:147], v[108:109], -v[4:5]
	v_fmac_f64_e32 v[116:117], v[148:149], v[108:109]
	v_fma_f64 v[108:109], v[150:151], v[112:113], -v[6:7]
	v_fmac_f64_e32 v[110:111], v[152:153], v[112:113]
	;; [unrolled: 2-line block ×9, first 2 shown]
	ds_write_b128 v145, v[114:117]
	ds_write_b128 v145, v[108:111] offset:528
	ds_write_b128 v145, v[140:143] offset:1056
	;; [unrolled: 1-line block ×8, first 2 shown]
	s_waitcnt lgkmcnt(0)
	s_barrier
	ds_read_b128 v[108:111], v145
	ds_read_b128 v[0:3], v145 offset:528
	ds_read_b128 v[112:115], v145 offset:1056
	ds_read_b128 v[116:119], v145 offset:1584
	ds_read_b128 v[120:123], v145 offset:4224
	ds_read_b128 v[124:127], v145 offset:3168
	ds_read_b128 v[128:131], v145 offset:3696
	ds_read_b128 v[132:135], v145 offset:2112
	ds_read_b128 v[136:139], v145 offset:2640
	s_waitcnt lgkmcnt(4)
	v_add_f64 v[4:5], v[0:1], v[120:121]
	v_add_f64 v[18:19], v[2:3], -v[122:123]
	v_add_f64 v[6:7], v[2:3], v[122:123]
	s_waitcnt lgkmcnt(2)
	v_add_f64 v[8:9], v[112:113], v[128:129]
	v_add_f64 v[10:11], v[114:115], v[130:131]
	v_add_f64 v[16:17], v[0:1], -v[120:121]
	v_add_f64 v[22:23], v[114:115], -v[130:131]
	v_mul_f64 v[114:115], v[18:19], s[10:11]
	v_fma_f64 v[0:1], s[14:15], v[4:5], v[108:109]
	v_add_f64 v[12:13], v[116:117], v[124:125]
	v_add_f64 v[20:21], v[112:113], -v[128:129]
	v_add_f64 v[24:25], v[116:117], -v[124:125]
	;; [unrolled: 1-line block ×3, first 2 shown]
	v_mul_f64 v[116:117], v[16:17], s[10:11]
	v_fmac_f64_e32 v[114:115], s[12:13], v[22:23]
	v_fma_f64 v[2:3], s[14:15], v[6:7], v[110:111]
	v_fmac_f64_e32 v[0:1], s[16:17], v[8:9]
	v_add_f64 v[14:15], v[118:119], v[126:127]
	v_fmac_f64_e32 v[116:117], s[12:13], v[20:21]
	v_fmac_f64_e32 v[114:115], s[0:1], v[26:27]
	s_waitcnt lgkmcnt(0)
	v_add_f64 v[142:143], v[134:135], -v[138:139]
	v_fmac_f64_e32 v[2:3], s[16:17], v[10:11]
	v_fmac_f64_e32 v[0:1], -0.5, v[12:13]
	v_add_f64 v[146:147], v[132:133], v[136:137]
	v_fmac_f64_e32 v[116:117], s[0:1], v[24:25]
	v_add_f64 v[140:141], v[132:133], -v[136:137]
	v_fmac_f64_e32 v[114:115], s[18:19], v[142:143]
	v_fmac_f64_e32 v[2:3], -0.5, v[14:15]
	v_add_f64 v[148:149], v[134:135], v[138:139]
	v_fmac_f64_e32 v[0:1], s[20:21], v[146:147]
	v_fmac_f64_e32 v[116:117], s[18:19], v[140:141]
	;; [unrolled: 1-line block ×3, first 2 shown]
	v_add_f64 v[0:1], v[0:1], -v[114:115]
	v_add_f64 v[2:3], v[116:117], v[2:3]
	v_mov_b64_e32 v[112:113], v[0:1]
	v_fmac_f64_e32 v[112:113], 2.0, v[114:115]
	v_mov_b64_e32 v[114:115], v[2:3]
	s_mov_b32 s11, 0xbfe491b7
	v_fmac_f64_e32 v[114:115], -2.0, v[116:117]
	v_mul_f64 v[122:123], v[142:143], s[10:11]
	v_fma_f64 v[116:117], s[14:15], v[146:147], v[108:109]
	v_mul_f64 v[124:125], v[140:141], s[10:11]
	v_fmac_f64_e32 v[122:123], s[12:13], v[18:19]
	v_fma_f64 v[118:119], s[14:15], v[148:149], v[110:111]
	v_fmac_f64_e32 v[116:117], s[16:17], v[4:5]
	v_fmac_f64_e32 v[124:125], s[12:13], v[16:17]
	;; [unrolled: 1-line block ×4, first 2 shown]
	v_fmac_f64_e32 v[116:117], -0.5, v[12:13]
	v_fmac_f64_e32 v[124:125], s[8:9], v[24:25]
	v_fmac_f64_e32 v[122:123], s[18:19], v[22:23]
	v_fmac_f64_e32 v[118:119], -0.5, v[14:15]
	v_fmac_f64_e32 v[116:117], s[20:21], v[8:9]
	v_fmac_f64_e32 v[124:125], s[18:19], v[20:21]
	;; [unrolled: 1-line block ×3, first 2 shown]
	v_add_f64 v[116:117], v[116:117], -v[122:123]
	v_add_f64 v[118:119], v[124:125], v[118:119]
	v_mov_b64_e32 v[120:121], v[116:117]
	v_fmac_f64_e32 v[120:121], 2.0, v[122:123]
	v_mov_b64_e32 v[122:123], v[118:119]
	v_fmac_f64_e32 v[122:123], -2.0, v[124:125]
	v_add_f64 v[124:125], v[140:141], v[16:17]
	v_add_f64 v[126:127], v[142:143], v[18:19]
	v_mul_f64 v[140:141], v[140:141], s[12:13]
	v_mul_f64 v[142:143], v[142:143], s[12:13]
	v_add_f64 v[128:129], v[124:125], -v[20:21]
	v_add_f64 v[130:131], v[126:127], -v[22:23]
	v_fma_f64 v[20:21], v[20:21], s[10:11], -v[140:141]
	v_fma_f64 v[22:23], v[22:23], s[10:11], -v[142:143]
	v_add_f64 v[154:155], v[8:9], v[4:5]
	v_add_f64 v[156:157], v[10:11], v[6:7]
	v_fmac_f64_e32 v[20:21], s[0:1], v[24:25]
	v_fmac_f64_e32 v[22:23], s[0:1], v[26:27]
	;; [unrolled: 1-line block ×4, first 2 shown]
	v_add_f64 v[16:17], v[12:13], v[154:155]
	v_add_f64 v[18:19], v[14:15], v[156:157]
	;; [unrolled: 1-line block ×10, first 2 shown]
	v_fmac_f64_e32 v[108:109], s[14:15], v[8:9]
	v_fmac_f64_e32 v[110:111], s[14:15], v[10:11]
	;; [unrolled: 1-line block ×4, first 2 shown]
	v_add_f64 v[158:159], v[146:147], v[154:155]
	v_add_f64 v[160:161], v[148:149], v[156:157]
	v_fmac_f64_e32 v[108:109], -0.5, v[12:13]
	v_fmac_f64_e32 v[110:111], -0.5, v[14:15]
	;; [unrolled: 1-line block ×4, first 2 shown]
	v_fmac_f64_e32 v[108:109], s[20:21], v[4:5]
	v_fmac_f64_e32 v[110:111], s[20:21], v[6:7]
	;; [unrolled: 1-line block ×4, first 2 shown]
	v_add_f64 v[108:109], v[108:109], -v[22:23]
	v_add_f64 v[110:111], v[20:21], v[110:111]
	v_mul_f64 v[150:151], v[128:129], s[0:1]
	v_mul_f64 v[152:153], v[130:131], s[0:1]
	v_mov_b64_e32 v[128:129], v[124:125]
	v_mov_b64_e32 v[130:131], v[126:127]
	;; [unrolled: 1-line block ×4, first 2 shown]
	v_fmac_f64_e32 v[128:129], 2.0, v[152:153]
	v_fmac_f64_e32 v[130:131], -2.0, v[150:151]
	v_fmac_f64_e32 v[136:137], 2.0, v[22:23]
	v_fmac_f64_e32 v[138:139], -2.0, v[20:21]
	s_barrier
	ds_write_b128 v242, v[132:135]
	ds_write_b128 v242, v[0:3] offset:16
	ds_write_b128 v242, v[116:119] offset:32
	;; [unrolled: 1-line block ×8, first 2 shown]
	s_waitcnt lgkmcnt(0)
	s_barrier
	ds_read_b128 v[108:111], v145
	ds_read_b128 v[112:115], v145 offset:528
	ds_read_b128 v[0:3], v145 offset:3168
	;; [unrolled: 1-line block ×8, first 2 shown]
	s_waitcnt lgkmcnt(4)
	v_mul_f64 v[4:5], v[42:43], v[126:127]
	v_fmac_f64_e32 v[4:5], v[40:41], v[124:125]
	v_mul_f64 v[8:9], v[38:39], v[2:3]
	v_mul_f64 v[6:7], v[42:43], v[124:125]
	v_fmac_f64_e32 v[8:9], v[36:37], v[0:1]
	v_mul_f64 v[0:1], v[38:39], v[0:1]
	v_add_f64 v[24:25], v[108:109], v[4:5]
	v_fma_f64 v[6:7], v[40:41], v[126:127], -v[6:7]
	v_fma_f64 v[0:1], v[36:37], v[2:3], -v[0:1]
	v_add_f64 v[36:37], v[24:25], v[8:9]
	v_add_f64 v[24:25], v[4:5], v[8:9]
	s_mov_b32 s8, 0xe8584caa
	v_fmac_f64_e32 v[108:109], -0.5, v[24:25]
	v_add_f64 v[24:25], v[6:7], -v[0:1]
	s_mov_b32 s0, s8
	v_fma_f64 v[40:41], s[8:9], v[24:25], v[108:109]
	v_fmac_f64_e32 v[108:109], s[0:1], v[24:25]
	v_add_f64 v[24:25], v[110:111], v[6:7]
	s_waitcnt lgkmcnt(2)
	v_mul_f64 v[2:3], v[54:55], v[130:131]
	v_add_f64 v[38:39], v[24:25], v[0:1]
	v_add_f64 v[0:1], v[6:7], v[0:1]
	v_fmac_f64_e32 v[2:3], v[52:53], v[128:129]
	v_mul_f64 v[12:13], v[50:51], v[122:123]
	v_fmac_f64_e32 v[110:111], -0.5, v[0:1]
	v_add_f64 v[0:1], v[4:5], -v[8:9]
	v_mul_f64 v[10:11], v[54:55], v[128:129]
	v_fmac_f64_e32 v[12:13], v[48:49], v[120:121]
	v_mul_f64 v[14:15], v[50:51], v[120:121]
	v_fma_f64 v[42:43], s[0:1], v[0:1], v[110:111]
	v_fmac_f64_e32 v[110:111], s[8:9], v[0:1]
	v_add_f64 v[0:1], v[112:113], v[2:3]
	v_fma_f64 v[10:11], v[52:53], v[130:131], -v[10:11]
	v_fma_f64 v[14:15], v[48:49], v[122:123], -v[14:15]
	v_add_f64 v[48:49], v[0:1], v[12:13]
	v_add_f64 v[0:1], v[2:3], v[12:13]
	v_fmac_f64_e32 v[112:113], -0.5, v[0:1]
	v_add_f64 v[0:1], v[10:11], -v[14:15]
	v_fma_f64 v[52:53], s[8:9], v[0:1], v[112:113]
	v_fmac_f64_e32 v[112:113], s[0:1], v[0:1]
	v_add_f64 v[0:1], v[114:115], v[10:11]
	s_waitcnt lgkmcnt(1)
	v_mul_f64 v[16:17], v[66:67], v[134:135]
	v_add_f64 v[50:51], v[0:1], v[14:15]
	v_add_f64 v[0:1], v[10:11], v[14:15]
	v_fmac_f64_e32 v[16:17], v[64:65], v[132:133]
	s_waitcnt lgkmcnt(0)
	v_mul_f64 v[20:21], v[62:63], v[138:139]
	v_fmac_f64_e32 v[114:115], -0.5, v[0:1]
	v_add_f64 v[0:1], v[2:3], -v[12:13]
	v_mul_f64 v[18:19], v[66:67], v[132:133]
	v_fmac_f64_e32 v[20:21], v[60:61], v[136:137]
	v_mul_f64 v[22:23], v[62:63], v[136:137]
	v_fma_f64 v[54:55], s[0:1], v[0:1], v[114:115]
	v_fmac_f64_e32 v[114:115], s[8:9], v[0:1]
	v_add_f64 v[0:1], v[116:117], v[16:17]
	v_fma_f64 v[18:19], v[64:65], v[134:135], -v[18:19]
	v_fma_f64 v[22:23], v[60:61], v[138:139], -v[22:23]
	v_add_f64 v[64:65], v[0:1], v[20:21]
	v_add_f64 v[0:1], v[16:17], v[20:21]
	v_fmac_f64_e32 v[116:117], -0.5, v[0:1]
	v_add_f64 v[0:1], v[18:19], -v[22:23]
	v_fma_f64 v[60:61], s[8:9], v[0:1], v[116:117]
	v_fmac_f64_e32 v[116:117], s[0:1], v[0:1]
	v_add_f64 v[0:1], v[118:119], v[18:19]
	v_add_f64 v[66:67], v[0:1], v[22:23]
	;; [unrolled: 1-line block ×3, first 2 shown]
	v_fmac_f64_e32 v[118:119], -0.5, v[0:1]
	v_add_f64 v[0:1], v[16:17], -v[20:21]
	v_fma_f64 v[62:63], s[0:1], v[0:1], v[118:119]
	v_fmac_f64_e32 v[118:119], s[8:9], v[0:1]
	v_accvgpr_read_b32 v0, a29
	s_barrier
	ds_write_b128 v241, v[36:39]
	ds_write_b128 v241, v[40:43] offset:144
	ds_write_b128 v241, v[108:111] offset:288
	ds_write_b128 v0, v[48:51]
	ds_write_b128 v0, v[52:55] offset:144
	ds_write_b128 v0, v[112:115] offset:288
	v_accvgpr_read_b32 v0, a30
	ds_write_b128 v0, v[64:67]
	ds_write_b128 v0, v[60:63] offset:144
	ds_write_b128 v0, v[116:119] offset:288
	s_waitcnt lgkmcnt(0)
	s_barrier
	s_and_saveexec_b64 s[0:1], vcc
	s_cbranch_execz .LBB0_7
; %bb.6:
	ds_read_b128 v[36:39], v145
	ds_read_b128 v[40:43], v145 offset:432
	ds_read_b128 v[108:111], v145 offset:864
	;; [unrolled: 1-line block ×10, first 2 shown]
.LBB0_7:
	s_or_b64 exec, exec, s[0:1]
	s_and_saveexec_b64 s[0:1], vcc
	s_cbranch_execz .LBB0_9
; %bb.8:
	s_waitcnt lgkmcnt(5)
	v_mul_f64 v[120:121], v[98:99], v[114:115]
	v_mul_f64 v[2:3], v[98:99], v[112:113]
	v_fmac_f64_e32 v[120:121], v[96:97], v[112:113]
	s_waitcnt lgkmcnt(4)
	v_mul_f64 v[122:123], v[94:95], v[66:67]
	v_fma_f64 v[96:97], v[96:97], v[114:115], -v[2:3]
	v_mul_f64 v[2:3], v[94:95], v[64:65]
	v_mul_f64 v[6:7], v[74:75], v[52:53]
	v_fmac_f64_e32 v[122:123], v[92:93], v[64:65]
	v_fma_f64 v[92:93], v[92:93], v[66:67], -v[2:3]
	v_mul_f64 v[64:65], v[74:75], v[54:55]
	s_waitcnt lgkmcnt(3)
	v_mul_f64 v[66:67], v[90:91], v[62:63]
	v_fma_f64 v[74:75], v[72:73], v[54:55], -v[6:7]
	v_mul_f64 v[6:7], v[90:91], v[60:61]
	v_mul_f64 v[10:11], v[70:71], v[48:49]
	v_fmac_f64_e32 v[66:67], v[88:89], v[60:61]
	v_fma_f64 v[62:63], v[88:89], v[62:63], -v[6:7]
	s_waitcnt lgkmcnt(2)
	v_mul_f64 v[60:61], v[82:83], v[118:119]
	v_fma_f64 v[88:89], v[68:69], v[50:51], -v[10:11]
	v_mul_f64 v[10:11], v[82:83], v[116:117]
	v_fmac_f64_e32 v[64:65], v[72:73], v[52:53]
	v_mul_f64 v[72:73], v[70:71], v[50:51]
	v_fmac_f64_e32 v[60:61], v[80:81], v[116:117]
	v_fma_f64 v[70:71], v[80:81], v[118:119], -v[10:11]
	v_mul_f64 v[80:81], v[58:59], v[110:111]
	v_mul_f64 v[14:15], v[58:59], v[108:109]
	v_fmac_f64_e32 v[72:73], v[68:69], v[48:49]
	v_fmac_f64_e32 v[80:81], v[56:57], v[108:109]
	s_waitcnt lgkmcnt(1)
	v_mul_f64 v[68:69], v[86:87], v[106:107]
	v_fma_f64 v[98:99], v[56:57], v[110:111], -v[14:15]
	v_mul_f64 v[14:15], v[86:87], v[104:105]
	v_mul_f64 v[82:83], v[46:47], v[42:43]
	s_waitcnt lgkmcnt(0)
	v_mul_f64 v[56:57], v[78:79], v[102:103]
	v_mul_f64 v[18:19], v[46:47], v[40:41]
	v_fmac_f64_e32 v[68:69], v[84:85], v[104:105]
	v_fma_f64 v[58:59], v[84:85], v[106:107], -v[14:15]
	v_fmac_f64_e32 v[82:83], v[44:45], v[40:41]
	v_fmac_f64_e32 v[56:57], v[76:77], v[100:101]
	s_mov_b32 s24, 0xfd768dbf
	v_fma_f64 v[84:85], v[44:45], v[42:43], -v[18:19]
	v_mul_f64 v[18:19], v[78:79], v[100:101]
	s_mov_b32 s26, 0xf8bb580b
	v_add_f64 v[110:111], v[82:83], -v[56:57]
	s_mov_b32 s25, 0xbfd207e7
	v_fma_f64 v[76:77], v[76:77], v[102:103], -v[18:19]
	s_mov_b32 s22, 0x9bcd5057
	s_mov_b32 s20, 0xbb3a28a1
	v_add_f64 v[116:117], v[80:81], -v[68:69]
	s_mov_b32 s27, 0x3fe14ced
	s_mov_b32 s18, 0x8764f0ba
	v_mul_f64 v[16:17], v[110:111], s[24:25]
	v_add_f64 v[78:79], v[84:85], v[76:77]
	s_mov_b32 s23, 0xbfeeb42a
	v_add_f64 v[126:127], v[72:73], -v[60:61]
	s_mov_b32 s21, 0xbfe82f19
	s_mov_b32 s16, 0x7f775887
	v_mul_f64 v[12:13], v[116:117], s[26:27]
	v_add_f64 v[86:87], v[98:99], v[58:59]
	s_mov_b32 s19, 0x3feaeb8c
	v_fma_f64 v[18:19], s[22:23], v[78:79], v[16:17]
	v_add_f64 v[134:135], v[84:85], -v[76:77]
	s_mov_b32 s10, 0x43842ef
	v_add_f64 v[112:113], v[64:65], -v[66:67]
	s_mov_b32 s15, 0x3fed1bb4
	s_mov_b32 s14, 0x8eee2c13
	;; [unrolled: 1-line block ×3, first 2 shown]
	v_mul_f64 v[8:9], v[126:127], s[20:21]
	v_add_f64 v[114:115], v[88:89], v[70:71]
	s_mov_b32 s17, 0xbfe4f49e
	v_fma_f64 v[14:15], s[18:19], v[86:87], v[12:13]
	v_add_f64 v[18:19], v[38:39], v[18:19]
	v_add_f64 v[132:133], v[98:99], -v[58:59]
	v_add_f64 v[108:109], v[82:83], v[56:57]
	v_mul_f64 v[26:27], v[134:135], s[24:25]
	v_add_f64 v[124:125], v[120:121], -v[122:123]
	s_mov_b32 s11, 0xbfefac9e
	s_mov_b32 s8, 0x640f44db
	v_mul_f64 v[4:5], v[112:113], s[14:15]
	v_add_f64 v[90:91], v[74:75], v[62:63]
	s_mov_b32 s13, 0x3fda9628
	v_fma_f64 v[10:11], s[16:17], v[114:115], v[8:9]
	v_add_f64 v[14:15], v[14:15], v[18:19]
	v_add_f64 v[130:131], v[88:89], -v[70:71]
	v_add_f64 v[106:107], v[80:81], v[68:69]
	v_mul_f64 v[22:23], v[132:133], s[26:27]
	v_fma_f64 v[40:41], v[108:109], s[22:23], -v[26:27]
	v_mul_f64 v[0:1], v[124:125], s[10:11]
	v_add_f64 v[94:95], v[96:97], v[92:93]
	s_mov_b32 s9, 0xbfc2375f
	v_fma_f64 v[6:7], s[12:13], v[90:91], v[4:5]
	v_add_f64 v[10:11], v[10:11], v[14:15]
	v_add_f64 v[128:129], v[74:75], -v[62:63]
	v_add_f64 v[104:105], v[72:73], v[60:61]
	v_mul_f64 v[18:19], v[130:131], s[20:21]
	v_fma_f64 v[24:25], v[106:107], s[18:19], -v[22:23]
	v_add_f64 v[40:41], v[36:37], v[40:41]
	v_fma_f64 v[2:3], s[8:9], v[94:95], v[0:1]
	v_add_f64 v[6:7], v[6:7], v[10:11]
	v_add_f64 v[118:119], v[96:97], -v[92:93]
	v_add_f64 v[102:103], v[64:65], v[66:67]
	v_mul_f64 v[10:11], v[128:129], s[14:15]
	v_fma_f64 v[20:21], v[104:105], s[16:17], -v[18:19]
	v_add_f64 v[24:25], v[24:25], v[40:41]
	v_add_f64 v[42:43], v[2:3], v[6:7]
	;; [unrolled: 1-line block ×3, first 2 shown]
	v_mul_f64 v[2:3], v[118:119], s[10:11]
	v_fma_f64 v[14:15], v[102:103], s[12:13], -v[10:11]
	v_add_f64 v[20:21], v[20:21], v[24:25]
	v_fma_f64 v[6:7], v[100:101], s[8:9], -v[2:3]
	v_add_f64 v[14:15], v[14:15], v[20:21]
	v_add_f64 v[40:41], v[6:7], v[14:15]
	v_fma_f64 v[6:7], v[114:115], s[16:17], -v[8:9]
	v_fma_f64 v[8:9], v[86:87], s[18:19], -v[12:13]
	;; [unrolled: 1-line block ×3, first 2 shown]
	v_add_f64 v[12:13], v[38:39], v[12:13]
	v_add_f64 v[8:9], v[8:9], v[12:13]
	v_fma_f64 v[4:5], v[90:91], s[12:13], -v[4:5]
	v_add_f64 v[6:7], v[6:7], v[8:9]
	v_fma_f64 v[0:1], v[94:95], s[8:9], -v[0:1]
	v_add_f64 v[4:5], v[4:5], v[6:7]
	v_fmac_f64_e32 v[26:27], s[22:23], v[108:109]
	v_add_f64 v[46:47], v[0:1], v[4:5]
	v_fmac_f64_e32 v[22:23], s[18:19], v[106:107]
	;; [unrolled: 2-line block ×3, first 2 shown]
	v_add_f64 v[0:1], v[22:23], v[0:1]
	s_mov_b32 s31, 0x3fefac9e
	s_mov_b32 s30, s10
	v_mul_f64 v[16:17], v[110:111], s[20:21]
	v_add_f64 v[0:1], v[18:19], v[0:1]
	s_mov_b32 s29, 0xbfe14ced
	s_mov_b32 s28, s26
	v_mul_f64 v[12:13], v[116:117], s[30:31]
	v_fma_f64 v[18:19], s[16:17], v[78:79], v[16:17]
	v_fmac_f64_e32 v[10:11], s[12:13], v[102:103]
	v_mul_f64 v[8:9], v[126:127], s[28:29]
	v_fma_f64 v[14:15], s[8:9], v[86:87], v[12:13]
	v_add_f64 v[18:19], v[38:39], v[18:19]
	v_mul_f64 v[26:27], v[134:135], s[20:21]
	v_fmac_f64_e32 v[2:3], s[8:9], v[100:101]
	v_add_f64 v[0:1], v[10:11], v[0:1]
	v_mul_f64 v[4:5], v[112:113], s[24:25]
	v_fma_f64 v[10:11], s[18:19], v[114:115], v[8:9]
	v_add_f64 v[14:15], v[14:15], v[18:19]
	v_mul_f64 v[22:23], v[132:133], s[30:31]
	v_fma_f64 v[48:49], v[108:109], s[16:17], -v[26:27]
	v_add_f64 v[44:45], v[2:3], v[0:1]
	v_mul_f64 v[0:1], v[124:125], s[14:15]
	v_fma_f64 v[6:7], s[22:23], v[90:91], v[4:5]
	v_add_f64 v[10:11], v[10:11], v[14:15]
	v_mul_f64 v[18:19], v[130:131], s[28:29]
	v_fma_f64 v[24:25], v[106:107], s[8:9], -v[22:23]
	v_add_f64 v[48:49], v[36:37], v[48:49]
	v_fma_f64 v[2:3], s[12:13], v[94:95], v[0:1]
	v_add_f64 v[6:7], v[6:7], v[10:11]
	v_mul_f64 v[10:11], v[128:129], s[24:25]
	v_fma_f64 v[20:21], v[104:105], s[18:19], -v[18:19]
	v_add_f64 v[24:25], v[24:25], v[48:49]
	v_add_f64 v[50:51], v[2:3], v[6:7]
	v_mul_f64 v[2:3], v[118:119], s[14:15]
	v_fma_f64 v[14:15], v[102:103], s[22:23], -v[10:11]
	v_add_f64 v[20:21], v[20:21], v[24:25]
	v_fma_f64 v[6:7], v[100:101], s[12:13], -v[2:3]
	v_add_f64 v[14:15], v[14:15], v[20:21]
	v_add_f64 v[48:49], v[6:7], v[14:15]
	v_fma_f64 v[6:7], v[114:115], s[18:19], -v[8:9]
	v_fma_f64 v[8:9], v[86:87], s[8:9], -v[12:13]
	;; [unrolled: 1-line block ×3, first 2 shown]
	v_add_f64 v[12:13], v[38:39], v[12:13]
	v_add_f64 v[8:9], v[8:9], v[12:13]
	v_fma_f64 v[4:5], v[90:91], s[22:23], -v[4:5]
	v_add_f64 v[6:7], v[6:7], v[8:9]
	v_fma_f64 v[0:1], v[94:95], s[12:13], -v[0:1]
	v_add_f64 v[4:5], v[4:5], v[6:7]
	v_fmac_f64_e32 v[26:27], s[16:17], v[108:109]
	v_add_f64 v[54:55], v[0:1], v[4:5]
	v_fmac_f64_e32 v[22:23], s[8:9], v[106:107]
	;; [unrolled: 2-line block ×3, first 2 shown]
	v_add_f64 v[0:1], v[22:23], v[0:1]
	s_mov_b32 s35, 0x3fd207e7
	s_mov_b32 s34, s24
	v_mul_f64 v[16:17], v[110:111], s[10:11]
	v_add_f64 v[0:1], v[18:19], v[0:1]
	v_mul_f64 v[12:13], v[116:117], s[34:35]
	v_fma_f64 v[18:19], s[8:9], v[78:79], v[16:17]
	v_fma_f64 v[16:17], v[78:79], s[8:9], -v[16:17]
	v_fmac_f64_e32 v[10:11], s[22:23], v[102:103]
	v_mul_f64 v[8:9], v[126:127], s[14:15]
	v_fma_f64 v[14:15], s[22:23], v[86:87], v[12:13]
	v_fma_f64 v[12:13], v[86:87], s[22:23], -v[12:13]
	v_add_f64 v[16:17], v[38:39], v[16:17]
	v_fmac_f64_e32 v[2:3], s[12:13], v[100:101]
	v_add_f64 v[0:1], v[10:11], v[0:1]
	v_mul_f64 v[6:7], v[112:113], s[28:29]
	v_fma_f64 v[10:11], s[12:13], v[114:115], v[8:9]
	v_mul_f64 v[136:137], v[134:135], s[10:11]
	v_fma_f64 v[8:9], v[114:115], s[12:13], -v[8:9]
	v_add_f64 v[12:13], v[12:13], v[16:17]
	v_add_f64 v[52:53], v[2:3], v[0:1]
	v_mul_f64 v[4:5], v[124:125], s[20:21]
	v_fma_f64 v[2:3], s[18:19], v[90:91], v[6:7]
	v_mul_f64 v[24:25], v[132:133], s[34:35]
	v_fma_f64 v[138:139], v[108:109], s[8:9], -v[136:137]
	v_fma_f64 v[6:7], v[90:91], s[18:19], -v[6:7]
	v_add_f64 v[8:9], v[8:9], v[12:13]
	v_fma_f64 v[0:1], s[16:17], v[94:95], v[4:5]
	v_add_f64 v[18:19], v[38:39], v[18:19]
	v_fma_f64 v[26:27], v[106:107], s[22:23], -v[24:25]
	v_add_f64 v[138:139], v[36:37], v[138:139]
	v_fma_f64 v[4:5], v[94:95], s[16:17], -v[4:5]
	v_add_f64 v[6:7], v[6:7], v[8:9]
	v_fmac_f64_e32 v[136:137], s[8:9], v[108:109]
	v_add_f64 v[14:15], v[14:15], v[18:19]
	v_mul_f64 v[20:21], v[130:131], s[14:15]
	v_add_f64 v[26:27], v[26:27], v[138:139]
	v_add_f64 v[138:139], v[4:5], v[6:7]
	v_fmac_f64_e32 v[24:25], s[22:23], v[106:107]
	v_add_f64 v[4:5], v[36:37], v[136:137]
	v_add_f64 v[10:11], v[10:11], v[14:15]
	v_mul_f64 v[14:15], v[128:129], s[28:29]
	v_fma_f64 v[22:23], v[104:105], s[12:13], -v[20:21]
	v_fmac_f64_e32 v[20:21], s[12:13], v[104:105]
	v_add_f64 v[4:5], v[24:25], v[4:5]
	s_mov_b32 s15, 0xbfed1bb4
	v_add_f64 v[2:3], v[2:3], v[10:11]
	v_mul_f64 v[10:11], v[118:119], s[20:21]
	v_fma_f64 v[18:19], v[102:103], s[18:19], -v[14:15]
	v_add_f64 v[22:23], v[22:23], v[26:27]
	v_add_f64 v[4:5], v[20:21], v[4:5]
	v_mul_f64 v[20:21], v[110:111], s[14:15]
	v_add_f64 v[2:3], v[0:1], v[2:3]
	v_fma_f64 v[0:1], v[100:101], s[16:17], -v[10:11]
	v_add_f64 v[18:19], v[18:19], v[22:23]
	v_mul_f64 v[16:17], v[116:117], s[20:21]
	v_fma_f64 v[22:23], s[12:13], v[78:79], v[20:21]
	v_add_f64 v[0:1], v[0:1], v[18:19]
	v_fmac_f64_e32 v[14:15], s[18:19], v[102:103]
	v_mul_f64 v[12:13], v[126:127], s[34:35]
	v_fma_f64 v[18:19], s[16:17], v[86:87], v[16:17]
	v_add_f64 v[22:23], v[38:39], v[22:23]
	v_mul_f64 v[146:147], v[134:135], s[14:15]
	v_fmac_f64_e32 v[10:11], s[16:17], v[100:101]
	v_add_f64 v[4:5], v[14:15], v[4:5]
	v_mul_f64 v[8:9], v[112:113], s[30:31]
	v_fma_f64 v[14:15], s[22:23], v[114:115], v[12:13]
	v_add_f64 v[18:19], v[18:19], v[22:23]
	v_mul_f64 v[26:27], v[132:133], s[20:21]
	v_fma_f64 v[148:149], v[108:109], s[12:13], -v[146:147]
	v_add_f64 v[136:137], v[10:11], v[4:5]
	v_mul_f64 v[4:5], v[124:125], s[26:27]
	v_fma_f64 v[10:11], s[8:9], v[90:91], v[8:9]
	v_add_f64 v[14:15], v[14:15], v[18:19]
	v_mul_f64 v[22:23], v[130:131], s[34:35]
	v_fma_f64 v[140:141], v[106:107], s[16:17], -v[26:27]
	v_add_f64 v[148:149], v[36:37], v[148:149]
	v_fma_f64 v[6:7], s[18:19], v[94:95], v[4:5]
	v_add_f64 v[10:11], v[10:11], v[14:15]
	v_mul_f64 v[14:15], v[128:129], s[30:31]
	v_fma_f64 v[24:25], v[104:105], s[22:23], -v[22:23]
	v_add_f64 v[140:141], v[140:141], v[148:149]
	v_add_f64 v[142:143], v[6:7], v[10:11]
	v_mul_f64 v[6:7], v[118:119], s[26:27]
	v_fma_f64 v[18:19], v[102:103], s[8:9], -v[14:15]
	v_add_f64 v[24:25], v[24:25], v[140:141]
	v_fma_f64 v[10:11], v[100:101], s[18:19], -v[6:7]
	v_add_f64 v[18:19], v[18:19], v[24:25]
	v_add_f64 v[140:141], v[10:11], v[18:19]
	v_fma_f64 v[10:11], v[114:115], s[22:23], -v[12:13]
	v_fma_f64 v[12:13], v[86:87], s[16:17], -v[16:17]
	;; [unrolled: 1-line block ×3, first 2 shown]
	v_add_f64 v[16:17], v[38:39], v[16:17]
	v_add_f64 v[12:13], v[12:13], v[16:17]
	v_fma_f64 v[8:9], v[90:91], s[8:9], -v[8:9]
	v_add_f64 v[10:11], v[10:11], v[12:13]
	v_fma_f64 v[4:5], v[94:95], s[18:19], -v[4:5]
	v_add_f64 v[8:9], v[8:9], v[10:11]
	v_fmac_f64_e32 v[146:147], s[12:13], v[108:109]
	v_add_f64 v[148:149], v[4:5], v[8:9]
	v_fmac_f64_e32 v[26:27], s[16:17], v[106:107]
	;; [unrolled: 2-line block ×3, first 2 shown]
	v_add_f64 v[4:5], v[26:27], v[4:5]
	v_mul_f64 v[20:21], v[110:111], s[28:29]
	v_add_f64 v[4:5], v[22:23], v[4:5]
	v_mul_f64 v[16:17], v[116:117], s[14:15]
	v_fma_f64 v[22:23], s[18:19], v[78:79], v[20:21]
	v_fmac_f64_e32 v[14:15], s[8:9], v[102:103]
	v_mul_f64 v[12:13], v[126:127], s[10:11]
	v_fma_f64 v[18:19], s[12:13], v[86:87], v[16:17]
	v_add_f64 v[22:23], v[38:39], v[22:23]
	v_fmac_f64_e32 v[6:7], s[18:19], v[100:101]
	v_add_f64 v[4:5], v[14:15], v[4:5]
	v_mul_f64 v[8:9], v[112:113], s[20:21]
	v_fma_f64 v[14:15], s[8:9], v[114:115], v[12:13]
	v_add_f64 v[18:19], v[18:19], v[22:23]
	v_add_f64 v[146:147], v[6:7], v[4:5]
	v_mul_f64 v[4:5], v[124:125], s[24:25]
	v_fma_f64 v[10:11], s[16:17], v[90:91], v[8:9]
	v_add_f64 v[14:15], v[14:15], v[18:19]
	v_fma_f64 v[6:7], s[22:23], v[94:95], v[4:5]
	v_add_f64 v[10:11], v[10:11], v[14:15]
	v_add_f64 v[112:113], v[6:7], v[10:11]
	v_mul_f64 v[6:7], v[118:119], s[24:25]
	v_mul_f64 v[118:119], v[134:135], s[28:29]
	v_mul_f64 v[26:27], v[132:133], s[14:15]
	v_fma_f64 v[116:117], v[108:109], s[18:19], -v[118:119]
	v_mul_f64 v[22:23], v[130:131], s[10:11]
	v_fma_f64 v[110:111], v[106:107], s[12:13], -v[26:27]
	v_add_f64 v[116:117], v[36:37], v[116:117]
	v_mul_f64 v[14:15], v[128:129], s[20:21]
	v_fma_f64 v[24:25], v[104:105], s[8:9], -v[22:23]
	v_add_f64 v[110:111], v[110:111], v[116:117]
	v_fma_f64 v[18:19], v[102:103], s[16:17], -v[14:15]
	v_add_f64 v[24:25], v[24:25], v[110:111]
	;; [unrolled: 2-line block ×3, first 2 shown]
	v_add_f64 v[110:111], v[10:11], v[18:19]
	v_fma_f64 v[10:11], v[114:115], s[8:9], -v[12:13]
	v_fma_f64 v[12:13], v[86:87], s[12:13], -v[16:17]
	;; [unrolled: 1-line block ×3, first 2 shown]
	v_add_f64 v[16:17], v[38:39], v[16:17]
	v_add_f64 v[12:13], v[12:13], v[16:17]
	v_fma_f64 v[8:9], v[90:91], s[16:17], -v[8:9]
	v_add_f64 v[10:11], v[10:11], v[12:13]
	v_fma_f64 v[4:5], v[94:95], s[22:23], -v[4:5]
	v_add_f64 v[8:9], v[8:9], v[10:11]
	v_fmac_f64_e32 v[118:119], s[18:19], v[108:109]
	v_add_f64 v[116:117], v[4:5], v[8:9]
	v_fmac_f64_e32 v[26:27], s[12:13], v[106:107]
	v_add_f64 v[4:5], v[36:37], v[118:119]
	v_fmac_f64_e32 v[22:23], s[8:9], v[104:105]
	v_add_f64 v[4:5], v[26:27], v[4:5]
	v_fmac_f64_e32 v[14:15], s[16:17], v[102:103]
	v_add_f64 v[4:5], v[22:23], v[4:5]
	v_fmac_f64_e32 v[6:7], s[22:23], v[100:101]
	v_add_f64 v[4:5], v[14:15], v[4:5]
	v_add_f64 v[114:115], v[6:7], v[4:5]
	;; [unrolled: 1-line block ×22, first 2 shown]
	v_lshl_add_u32 v4, v243, 4, v240
	ds_write_b128 v145, v[36:39]
	ds_write_b128 v4, v[114:117] offset:432
	ds_write_b128 v4, v[146:149] offset:864
	;; [unrolled: 1-line block ×10, first 2 shown]
.LBB0_9:
	s_or_b64 exec, exec, s[0:1]
	s_waitcnt lgkmcnt(0)
	s_barrier
	ds_read_b128 v[0:3], v145
	ds_read_b128 v[36:39], v145 offset:528
	v_mad_u64_u32 v[6:7], s[0:1], s6, v144, 0
	v_mov_b32_e32 v8, v7
	v_accvgpr_read_b32 v10, a24
	v_mad_u64_u32 v[8:9], s[0:1], s7, v144, v[8:9]
	v_accvgpr_read_b32 v12, a26
	v_accvgpr_read_b32 v13, a27
	v_mov_b32_e32 v7, v8
	v_accvgpr_read_b32 v11, a25
	s_waitcnt lgkmcnt(1)
	v_mul_f64 v[8:9], v[12:13], v[2:3]
	v_fmac_f64_e32 v[8:9], v[10:11], v[0:1]
	s_mov_b32 s0, 0x2b18ff23
	v_mul_f64 v[0:1], v[12:13], v[0:1]
	s_mov_b32 s1, 0x3f6b951e
	v_fma_f64 v[0:1], v[10:11], v[2:3], -v[0:1]
	v_mov_b32_e32 v4, s2
	v_mov_b32_e32 v5, s3
	v_mul_f64 v[42:43], v[0:1], s[0:1]
	v_mad_u64_u32 v[0:1], s[2:3], s4, v243, 0
	v_mov_b32_e32 v2, v1
	v_mad_u64_u32 v[2:3], s[2:3], s5, v243, v[2:3]
	v_mov_b32_e32 v1, v2
	v_lshl_add_u64 v[2:3], v[6:7], 4, v[4:5]
	v_mul_f64 v[40:41], v[8:9], s[0:1]
	v_lshl_add_u64 v[4:5], v[0:1], 4, v[2:3]
	v_mov_b32_e32 v16, 0x210
	global_store_dwordx4 v[4:5], v[40:43], off
	v_mad_u64_u32 v[8:9], s[2:3], s4, v16, v[4:5]
	ds_read_b128 v[4:7], v145 offset:1056
	s_waitcnt lgkmcnt(1)
	v_mul_f64 v[0:1], v[250:251], v[38:39]
	v_mul_f64 v[2:3], v[250:251], v[36:37]
	v_fmac_f64_e32 v[0:1], v[248:249], v[36:37]
	v_fma_f64 v[2:3], v[248:249], v[38:39], -v[2:3]
	s_mul_i32 s2, s5, 0x210
	v_mul_f64 v[0:1], v[0:1], s[0:1]
	v_mul_f64 v[2:3], v[2:3], s[0:1]
	v_add_u32_e32 v9, s2, v9
	v_accvgpr_read_b32 v12, a20
	global_store_dwordx4 v[8:9], v[0:3], off
	ds_read_b128 v[0:3], v145 offset:1584
	v_accvgpr_read_b32 v14, a22
	v_accvgpr_read_b32 v15, a23
	;; [unrolled: 1-line block ×3, first 2 shown]
	s_waitcnt lgkmcnt(1)
	v_mul_f64 v[10:11], v[14:15], v[6:7]
	v_fmac_f64_e32 v[10:11], v[12:13], v[4:5]
	v_mul_f64 v[4:5], v[14:15], v[4:5]
	v_mul_f64 v[24:25], v[10:11], s[0:1]
	v_fma_f64 v[4:5], v[12:13], v[6:7], -v[4:5]
	v_accvgpr_read_b32 v10, a12
	v_accvgpr_read_b32 v12, a14
	;; [unrolled: 1-line block ×3, first 2 shown]
	v_mul_f64 v[26:27], v[4:5], s[0:1]
	v_accvgpr_read_b32 v11, a13
	s_waitcnt lgkmcnt(0)
	v_mul_f64 v[4:5], v[12:13], v[2:3]
	v_fmac_f64_e32 v[4:5], v[10:11], v[0:1]
	v_mul_f64 v[0:1], v[12:13], v[0:1]
	v_mad_u64_u32 v[8:9], s[6:7], s4, v16, v[8:9]
	v_fma_f64 v[0:1], v[10:11], v[2:3], -v[0:1]
	v_add_u32_e32 v9, s2, v9
	v_mul_f64 v[6:7], v[0:1], s[0:1]
	ds_read_b128 v[0:3], v145 offset:2112
	global_store_dwordx4 v[8:9], v[24:27], off
	v_mad_u64_u32 v[8:9], s[6:7], s4, v16, v[8:9]
	v_mul_f64 v[4:5], v[4:5], s[0:1]
	v_add_u32_e32 v9, s2, v9
	global_store_dwordx4 v[8:9], v[4:7], off
	ds_read_b128 v[4:7], v145 offset:2640
	s_waitcnt lgkmcnt(1)
	v_mul_f64 v[10:11], v[34:35], v[2:3]
	v_fmac_f64_e32 v[10:11], v[32:33], v[0:1]
	v_mul_f64 v[0:1], v[34:35], v[0:1]
	v_fma_f64 v[0:1], v[32:33], v[2:3], -v[0:1]
	v_mul_f64 v[14:15], v[0:1], s[0:1]
	v_mad_u64_u32 v[8:9], s[6:7], s4, v16, v[8:9]
	s_waitcnt lgkmcnt(0)
	v_mul_f64 v[0:1], v[254:255], v[6:7]
	v_mul_f64 v[2:3], v[254:255], v[4:5]
	;; [unrolled: 1-line block ×3, first 2 shown]
	v_add_u32_e32 v9, s2, v9
	v_fmac_f64_e32 v[0:1], v[252:253], v[4:5]
	v_fma_f64 v[2:3], v[252:253], v[6:7], -v[2:3]
	ds_read_b128 v[4:7], v145 offset:3168
	global_store_dwordx4 v[8:9], v[12:15], off
	v_mul_f64 v[0:1], v[0:1], s[0:1]
	v_mul_f64 v[2:3], v[2:3], s[0:1]
	v_mad_u64_u32 v[12:13], s[6:7], s4, v16, v[8:9]
	v_add_u32_e32 v13, s2, v13
	global_store_dwordx4 v[12:13], v[0:3], off
	ds_read_b128 v[0:3], v145 offset:3696
	s_waitcnt lgkmcnt(1)
	v_mul_f64 v[8:9], v[30:31], v[6:7]
	v_fmac_f64_e32 v[8:9], v[28:29], v[4:5]
	v_mul_f64 v[4:5], v[30:31], v[4:5]
	v_fma_f64 v[4:5], v[28:29], v[6:7], -v[4:5]
	v_mul_f64 v[10:11], v[4:5], s[0:1]
	s_waitcnt lgkmcnt(0)
	v_mul_f64 v[4:5], v[246:247], v[2:3]
	v_fmac_f64_e32 v[4:5], v[244:245], v[0:1]
	v_mul_f64 v[0:1], v[246:247], v[0:1]
	v_fma_f64 v[0:1], v[244:245], v[2:3], -v[0:1]
	v_mul_f64 v[6:7], v[0:1], s[0:1]
	ds_read_b128 v[0:3], v145 offset:4224
	v_mad_u64_u32 v[12:13], s[6:7], s4, v16, v[12:13]
	v_mul_f64 v[8:9], v[8:9], s[0:1]
	v_add_u32_e32 v13, s2, v13
	global_store_dwordx4 v[12:13], v[8:11], off
	v_mul_f64 v[4:5], v[4:5], s[0:1]
	s_nop 0
	v_mad_u64_u32 v[8:9], s[6:7], s4, v16, v[12:13]
	v_accvgpr_read_b32 v10, a16
	v_add_u32_e32 v9, s2, v9
	v_accvgpr_read_b32 v12, a18
	v_accvgpr_read_b32 v13, a19
	global_store_dwordx4 v[8:9], v[4:7], off
	v_accvgpr_read_b32 v11, a17
	s_waitcnt lgkmcnt(0)
	v_mul_f64 v[4:5], v[12:13], v[2:3]
	v_fmac_f64_e32 v[4:5], v[10:11], v[0:1]
	v_mul_f64 v[0:1], v[12:13], v[0:1]
	v_fma_f64 v[0:1], v[10:11], v[2:3], -v[0:1]
	v_mul_f64 v[4:5], v[4:5], s[0:1]
	v_mul_f64 v[6:7], v[0:1], s[0:1]
	v_mad_u64_u32 v[0:1], s[0:1], s4, v16, v[8:9]
	v_add_u32_e32 v1, s2, v1
	global_store_dwordx4 v[0:1], v[4:7], off
.LBB0_10:
	s_endpgm
	.section	.rodata,"a",@progbits
	.p2align	6, 0x0
	.amdhsa_kernel bluestein_single_fwd_len297_dim1_dp_op_CI_CI
		.amdhsa_group_segment_fixed_size 33264
		.amdhsa_private_segment_fixed_size 0
		.amdhsa_kernarg_size 104
		.amdhsa_user_sgpr_count 2
		.amdhsa_user_sgpr_dispatch_ptr 0
		.amdhsa_user_sgpr_queue_ptr 0
		.amdhsa_user_sgpr_kernarg_segment_ptr 1
		.amdhsa_user_sgpr_dispatch_id 0
		.amdhsa_user_sgpr_kernarg_preload_length 0
		.amdhsa_user_sgpr_kernarg_preload_offset 0
		.amdhsa_user_sgpr_private_segment_size 0
		.amdhsa_uses_dynamic_stack 0
		.amdhsa_enable_private_segment 0
		.amdhsa_system_sgpr_workgroup_id_x 1
		.amdhsa_system_sgpr_workgroup_id_y 0
		.amdhsa_system_sgpr_workgroup_id_z 0
		.amdhsa_system_sgpr_workgroup_info 0
		.amdhsa_system_vgpr_workitem_id 0
		.amdhsa_next_free_vgpr 322
		.amdhsa_next_free_sgpr 42
		.amdhsa_accum_offset 256
		.amdhsa_reserve_vcc 1
		.amdhsa_float_round_mode_32 0
		.amdhsa_float_round_mode_16_64 0
		.amdhsa_float_denorm_mode_32 3
		.amdhsa_float_denorm_mode_16_64 3
		.amdhsa_dx10_clamp 1
		.amdhsa_ieee_mode 1
		.amdhsa_fp16_overflow 0
		.amdhsa_tg_split 0
		.amdhsa_exception_fp_ieee_invalid_op 0
		.amdhsa_exception_fp_denorm_src 0
		.amdhsa_exception_fp_ieee_div_zero 0
		.amdhsa_exception_fp_ieee_overflow 0
		.amdhsa_exception_fp_ieee_underflow 0
		.amdhsa_exception_fp_ieee_inexact 0
		.amdhsa_exception_int_div_zero 0
	.end_amdhsa_kernel
	.text
.Lfunc_end0:
	.size	bluestein_single_fwd_len297_dim1_dp_op_CI_CI, .Lfunc_end0-bluestein_single_fwd_len297_dim1_dp_op_CI_CI
                                        ; -- End function
	.section	.AMDGPU.csdata,"",@progbits
; Kernel info:
; codeLenInByte = 12972
; NumSgprs: 48
; NumVgprs: 256
; NumAgprs: 66
; TotalNumVgprs: 322
; ScratchSize: 0
; MemoryBound: 0
; FloatMode: 240
; IeeeMode: 1
; LDSByteSize: 33264 bytes/workgroup (compile time only)
; SGPRBlocks: 5
; VGPRBlocks: 40
; NumSGPRsForWavesPerEU: 48
; NumVGPRsForWavesPerEU: 322
; AccumOffset: 256
; Occupancy: 1
; WaveLimiterHint : 1
; COMPUTE_PGM_RSRC2:SCRATCH_EN: 0
; COMPUTE_PGM_RSRC2:USER_SGPR: 2
; COMPUTE_PGM_RSRC2:TRAP_HANDLER: 0
; COMPUTE_PGM_RSRC2:TGID_X_EN: 1
; COMPUTE_PGM_RSRC2:TGID_Y_EN: 0
; COMPUTE_PGM_RSRC2:TGID_Z_EN: 0
; COMPUTE_PGM_RSRC2:TIDIG_COMP_CNT: 0
; COMPUTE_PGM_RSRC3_GFX90A:ACCUM_OFFSET: 63
; COMPUTE_PGM_RSRC3_GFX90A:TG_SPLIT: 0
	.text
	.p2alignl 6, 3212836864
	.fill 256, 4, 3212836864
	.type	__hip_cuid_d1f639f387fadafe,@object ; @__hip_cuid_d1f639f387fadafe
	.section	.bss,"aw",@nobits
	.globl	__hip_cuid_d1f639f387fadafe
__hip_cuid_d1f639f387fadafe:
	.byte	0                               ; 0x0
	.size	__hip_cuid_d1f639f387fadafe, 1

	.ident	"AMD clang version 19.0.0git (https://github.com/RadeonOpenCompute/llvm-project roc-6.4.0 25133 c7fe45cf4b819c5991fe208aaa96edf142730f1d)"
	.section	".note.GNU-stack","",@progbits
	.addrsig
	.addrsig_sym __hip_cuid_d1f639f387fadafe
	.amdgpu_metadata
---
amdhsa.kernels:
  - .agpr_count:     66
    .args:
      - .actual_access:  read_only
        .address_space:  global
        .offset:         0
        .size:           8
        .value_kind:     global_buffer
      - .actual_access:  read_only
        .address_space:  global
        .offset:         8
        .size:           8
        .value_kind:     global_buffer
      - .actual_access:  read_only
        .address_space:  global
        .offset:         16
        .size:           8
        .value_kind:     global_buffer
      - .actual_access:  read_only
        .address_space:  global
        .offset:         24
        .size:           8
        .value_kind:     global_buffer
      - .actual_access:  read_only
        .address_space:  global
        .offset:         32
        .size:           8
        .value_kind:     global_buffer
      - .offset:         40
        .size:           8
        .value_kind:     by_value
      - .address_space:  global
        .offset:         48
        .size:           8
        .value_kind:     global_buffer
      - .address_space:  global
        .offset:         56
        .size:           8
        .value_kind:     global_buffer
      - .address_space:  global
        .offset:         64
        .size:           8
        .value_kind:     global_buffer
      - .address_space:  global
        .offset:         72
        .size:           8
        .value_kind:     global_buffer
      - .offset:         80
        .size:           4
        .value_kind:     by_value
      - .address_space:  global
        .offset:         88
        .size:           8
        .value_kind:     global_buffer
      - .address_space:  global
        .offset:         96
        .size:           8
        .value_kind:     global_buffer
    .group_segment_fixed_size: 33264
    .kernarg_segment_align: 8
    .kernarg_segment_size: 104
    .language:       OpenCL C
    .language_version:
      - 2
      - 0
    .max_flat_workgroup_size: 231
    .name:           bluestein_single_fwd_len297_dim1_dp_op_CI_CI
    .private_segment_fixed_size: 0
    .sgpr_count:     48
    .sgpr_spill_count: 0
    .symbol:         bluestein_single_fwd_len297_dim1_dp_op_CI_CI.kd
    .uniform_work_group_size: 1
    .uses_dynamic_stack: false
    .vgpr_count:     322
    .vgpr_spill_count: 0
    .wavefront_size: 64
amdhsa.target:   amdgcn-amd-amdhsa--gfx950
amdhsa.version:
  - 1
  - 2
...

	.end_amdgpu_metadata
